;; amdgpu-corpus repo=ROCm/rocFFT kind=compiled arch=gfx1201 opt=O3
	.text
	.amdgcn_target "amdgcn-amd-amdhsa--gfx1201"
	.amdhsa_code_object_version 6
	.protected	bluestein_single_back_len1080_dim1_dp_op_CI_CI ; -- Begin function bluestein_single_back_len1080_dim1_dp_op_CI_CI
	.globl	bluestein_single_back_len1080_dim1_dp_op_CI_CI
	.p2align	8
	.type	bluestein_single_back_len1080_dim1_dp_op_CI_CI,@function
bluestein_single_back_len1080_dim1_dp_op_CI_CI: ; @bluestein_single_back_len1080_dim1_dp_op_CI_CI
; %bb.0:
	s_load_b128 s[12:15], s[0:1], 0x28
	v_mul_u32_u24_e32 v1, 0x25f, v0
	v_mov_b32_e32 v181, 0
	s_mov_b32 s2, exec_lo
	s_delay_alu instid0(VALU_DEP_2) | instskip(NEXT) | instid1(VALU_DEP_1)
	v_lshrrev_b32_e32 v26, 16, v1
	v_lshl_add_u32 v180, ttmp9, 1, v26
	s_wait_kmcnt 0x0
	s_delay_alu instid0(VALU_DEP_1)
	v_cmpx_gt_u64_e64 s[12:13], v[180:181]
	s_cbranch_execz .LBB0_31
; %bb.1:
	s_clause 0x1
	s_load_b128 s[4:7], s[0:1], 0x18
	s_load_b64 s[12:13], s[0:1], 0x0
	v_mul_lo_u16 v1, 0x6c, v26
	v_and_b32_e32 v26, 1, v26
	s_delay_alu instid0(VALU_DEP_2) | instskip(NEXT) | instid1(VALU_DEP_1)
	v_sub_nc_u16 v75, v0, v1
	v_and_b32_e32 v183, 0xffff, v75
	s_delay_alu instid0(VALU_DEP_1)
	v_lshlrev_b32_e32 v186, 4, v183
	s_wait_kmcnt 0x0
	s_load_b128 s[8:11], s[4:5], 0x0
	s_wait_kmcnt 0x0
	v_mad_co_u64_u32 v[0:1], null, s10, v180, 0
	v_mad_co_u64_u32 v[2:3], null, s8, v183, 0
	s_mul_u64 s[2:3], s[8:9], 0xb4
	s_delay_alu instid0(VALU_DEP_1) | instskip(NEXT) | instid1(VALU_DEP_1)
	v_mad_co_u64_u32 v[4:5], null, s11, v180, v[1:2]
	v_mad_co_u64_u32 v[5:6], null, s9, v183, v[3:4]
	v_mov_b32_e32 v1, v4
	s_delay_alu instid0(VALU_DEP_1) | instskip(NEXT) | instid1(VALU_DEP_3)
	v_lshlrev_b64_e32 v[0:1], 4, v[0:1]
	v_mov_b32_e32 v3, v5
	s_delay_alu instid0(VALU_DEP_2) | instskip(NEXT) | instid1(VALU_DEP_2)
	v_add_co_u32 v0, vcc_lo, s14, v0
	v_lshlrev_b64_e32 v[2:3], 4, v[2:3]
	s_delay_alu instid0(VALU_DEP_4) | instskip(SKIP_2) | instid1(VALU_DEP_3)
	v_add_co_ci_u32_e32 v1, vcc_lo, s15, v1, vcc_lo
	s_lshl_b64 s[14:15], s[2:3], 4
	v_add_co_u32 v181, s2, s12, v186
	v_add_co_u32 v16, vcc_lo, v0, v2
	s_wait_alu 0xfffd
	v_add_co_ci_u32_e32 v17, vcc_lo, v1, v3, vcc_lo
	s_clause 0x1
	global_load_b128 v[0:3], v186, s[12:13]
	global_load_b128 v[4:7], v186, s[12:13] offset:2880
	s_wait_alu 0xfffe
	v_add_co_u32 v18, vcc_lo, v16, s14
	s_wait_alu 0xfffd
	v_add_co_ci_u32_e32 v19, vcc_lo, s15, v17, vcc_lo
	s_clause 0x1
	global_load_b128 v[8:11], v186, s[12:13] offset:5760
	global_load_b128 v[12:15], v186, s[12:13] offset:8640
	v_add_co_u32 v20, vcc_lo, v18, s14
	s_wait_alu 0xfffd
	v_add_co_ci_u32_e32 v21, vcc_lo, s15, v19, vcc_lo
	s_clause 0x1
	global_load_b128 v[27:30], v[16:17], off
	global_load_b128 v[31:34], v[18:19], off
	v_add_co_u32 v22, vcc_lo, v20, s14
	s_wait_alu 0xfffd
	v_add_co_ci_u32_e32 v23, vcc_lo, s15, v21, vcc_lo
	global_load_b128 v[35:38], v[20:21], off
	v_add_co_u32 v16, vcc_lo, v22, s14
	s_wait_alu 0xfffd
	v_add_co_ci_u32_e32 v17, vcc_lo, s15, v23, vcc_lo
	v_add_co_ci_u32_e64 v182, null, s13, 0, s2
	s_delay_alu instid0(VALU_DEP_3) | instskip(SKIP_1) | instid1(VALU_DEP_3)
	v_add_co_u32 v24, vcc_lo, v16, s14
	s_wait_alu 0xfffd
	v_add_co_ci_u32_e32 v25, vcc_lo, s15, v17, vcc_lo
	s_clause 0x1
	global_load_b128 v[39:42], v[22:23], off
	global_load_b128 v[43:46], v[16:17], off
	s_clause 0x1
	global_load_b128 v[16:19], v186, s[12:13] offset:11520
	global_load_b128 v[20:23], v186, s[12:13] offset:14400
	global_load_b128 v[47:50], v[24:25], off
	v_cmp_eq_u32_e32 vcc_lo, 1, v26
	s_load_b64 s[10:11], s[0:1], 0x38
	s_load_b128 s[4:7], s[6:7], 0x0
	v_cndmask_b32_e64 v193, 0, 0x438, vcc_lo
	v_cmp_gt_u16_e32 vcc_lo, 0x48, v75
	s_delay_alu instid0(VALU_DEP_2) | instskip(NEXT) | instid1(VALU_DEP_1)
	v_lshlrev_b32_e32 v185, 4, v193
	v_add_nc_u32_e32 v184, v185, v186
	s_wait_loadcnt 0x7
	v_mul_f64_e32 v[51:52], v[29:30], v[2:3]
	v_mul_f64_e32 v[53:54], v[27:28], v[2:3]
	s_wait_loadcnt 0x6
	v_mul_f64_e32 v[55:56], v[33:34], v[6:7]
	v_mul_f64_e32 v[57:58], v[31:32], v[6:7]
	;; [unrolled: 3-line block ×6, first 2 shown]
	v_fma_f64 v[27:28], v[27:28], v[0:1], v[51:52]
	v_fma_f64 v[29:30], v[29:30], v[0:1], -v[53:54]
	v_fma_f64 v[31:32], v[31:32], v[4:5], v[55:56]
	v_fma_f64 v[33:34], v[33:34], v[4:5], -v[57:58]
	ds_store_b128 v184, v[27:30]
	ds_store_b128 v184, v[31:34] offset:2880
	v_fma_f64 v[35:36], v[35:36], v[8:9], v[59:60]
	v_fma_f64 v[37:38], v[37:38], v[8:9], -v[61:62]
	v_fma_f64 v[39:40], v[39:40], v[12:13], v[63:64]
	v_fma_f64 v[41:42], v[41:42], v[12:13], -v[65:66]
	;; [unrolled: 2-line block ×4, first 2 shown]
	ds_store_b128 v184, v[35:38] offset:5760
	ds_store_b128 v184, v[39:42] offset:8640
	;; [unrolled: 1-line block ×4, first 2 shown]
	s_and_saveexec_b32 s3, vcc_lo
	s_cbranch_execz .LBB0_3
; %bb.2:
	v_mad_co_u64_u32 v[40:41], null, 0xffffce80, s8, v[24:25]
	s_mul_i32 s2, s9, 0xffffce80
	s_clause 0x1
	global_load_b128 v[24:27], v[181:182], off offset:1728
	global_load_b128 v[28:31], v[181:182], off offset:4608
	s_wait_alu 0xfffe
	s_sub_co_i32 s2, s2, s8
	s_clause 0x1
	global_load_b128 v[32:35], v[181:182], off offset:7488
	global_load_b128 v[36:39], v[181:182], off offset:10368
	s_wait_alu 0xfffe
	v_add_nc_u32_e32 v41, s2, v41
	v_add_co_u32 v44, s2, v40, s14
	s_wait_alu 0xf1ff
	s_delay_alu instid0(VALU_DEP_2) | instskip(NEXT) | instid1(VALU_DEP_2)
	v_add_co_ci_u32_e64 v45, s2, s15, v41, s2
	v_add_co_u32 v48, s2, v44, s14
	global_load_b128 v[40:43], v[40:41], off
	s_wait_alu 0xf1ff
	v_add_co_ci_u32_e64 v49, s2, s15, v45, s2
	v_add_co_u32 v52, s2, v48, s14
	global_load_b128 v[44:47], v[44:45], off
	s_wait_alu 0xf1ff
	;; [unrolled: 4-line block ×3, first 2 shown]
	v_add_co_ci_u32_e64 v57, s2, s15, v53, s2
	v_add_co_u32 v68, s2, v56, s14
	s_wait_alu 0xf1ff
	s_delay_alu instid0(VALU_DEP_2)
	v_add_co_ci_u32_e64 v69, s2, s15, v57, s2
	global_load_b128 v[52:55], v[52:53], off
	global_load_b128 v[56:59], v[56:57], off
	s_clause 0x1
	global_load_b128 v[60:63], v[181:182], off offset:13248
	global_load_b128 v[64:67], v[181:182], off offset:16128
	global_load_b128 v[68:71], v[68:69], off
	s_wait_loadcnt 0x7
	v_mul_f64_e32 v[72:73], v[42:43], v[26:27]
	v_mul_f64_e32 v[26:27], v[40:41], v[26:27]
	s_wait_loadcnt 0x6
	v_mul_f64_e32 v[74:75], v[46:47], v[30:31]
	v_mul_f64_e32 v[30:31], v[44:45], v[30:31]
	;; [unrolled: 3-line block ×6, first 2 shown]
	v_fma_f64 v[38:39], v[40:41], v[24:25], v[72:73]
	v_fma_f64 v[40:41], v[42:43], v[24:25], -v[26:27]
	v_fma_f64 v[24:25], v[44:45], v[28:29], v[74:75]
	v_fma_f64 v[26:27], v[46:47], v[28:29], -v[30:31]
	;; [unrolled: 2-line block ×6, first 2 shown]
	ds_store_b128 v184, v[38:41] offset:1728
	ds_store_b128 v184, v[24:27] offset:4608
	;; [unrolled: 1-line block ×6, first 2 shown]
.LBB0_3:
	s_wait_alu 0xfffe
	s_or_b32 exec_lo, exec_lo, s3
	global_wb scope:SCOPE_SE
	s_wait_dscnt 0x0
	s_wait_kmcnt 0x0
	s_barrier_signal -1
	s_barrier_wait -1
	global_inv scope:SCOPE_SE
	ds_load_b128 v[56:59], v184
	ds_load_b128 v[64:67], v184 offset:2880
	ds_load_b128 v[60:63], v184 offset:5760
	;; [unrolled: 1-line block ×5, first 2 shown]
                                        ; implicit-def: $vgpr24_vgpr25
                                        ; implicit-def: $vgpr28_vgpr29
                                        ; implicit-def: $vgpr32_vgpr33
                                        ; implicit-def: $vgpr36_vgpr37
                                        ; implicit-def: $vgpr40_vgpr41
                                        ; implicit-def: $vgpr44_vgpr45
	s_and_saveexec_b32 s2, vcc_lo
	s_cbranch_execz .LBB0_5
; %bb.4:
	ds_load_b128 v[24:27], v184 offset:1728
	ds_load_b128 v[28:31], v184 offset:4608
	;; [unrolled: 1-line block ×6, first 2 shown]
.LBB0_5:
	s_wait_alu 0xfffe
	s_or_b32 exec_lo, exec_lo, s2
	s_wait_dscnt 0x0
	v_add_f64_e32 v[72:73], v[70:71], v[50:51]
	v_add_f64_e32 v[74:75], v[68:69], v[48:49]
	;; [unrolled: 1-line block ×4, first 2 shown]
	v_add_f64_e64 v[80:81], v[70:71], -v[50:51]
	v_add_f64_e64 v[82:83], v[68:69], -v[48:49]
	;; [unrolled: 1-line block ×4, first 2 shown]
	s_mov_b32 s2, 0xe8584caa
	s_mov_b32 s3, 0x3febb67a
	;; [unrolled: 1-line block ×3, first 2 shown]
	s_wait_alu 0xfffe
	s_mov_b32 s8, s2
	v_add_f64_e32 v[88:89], v[60:61], v[52:53]
	v_add_f64_e32 v[90:91], v[62:63], v[54:55]
	v_add_f64_e64 v[102:103], v[32:33], -v[40:41]
	v_add_co_u32 v194, null, 0x6c, v183
	global_wb scope:SCOPE_SE
	s_barrier_signal -1
	s_barrier_wait -1
	v_mul_u32_u24_e32 v189, 6, v194
	global_inv scope:SCOPE_SE
	v_fma_f64 v[72:73], v[72:73], -0.5, v[66:67]
	v_fma_f64 v[74:75], v[74:75], -0.5, v[64:65]
	;; [unrolled: 1-line block ×4, first 2 shown]
	v_add_f64_e32 v[64:65], v[64:65], v[68:69]
	v_add_f64_e32 v[66:67], v[66:67], v[70:71]
	v_add_f64_e64 v[68:69], v[34:35], -v[42:43]
	s_wait_alu 0xfffe
	v_fma_f64 v[92:93], v[82:83], s[8:9], v[72:73]
	v_fma_f64 v[94:95], v[80:81], s[8:9], v[74:75]
	;; [unrolled: 1-line block ×4, first 2 shown]
	v_add_f64_e32 v[80:81], v[32:33], v[40:41]
	v_add_f64_e32 v[82:83], v[34:35], v[42:43]
	v_fma_f64 v[96:97], v[86:87], s[8:9], v[76:77]
	v_fma_f64 v[98:99], v[84:85], s[8:9], v[78:79]
	;; [unrolled: 1-line block ×4, first 2 shown]
	v_add_f64_e32 v[84:85], v[56:57], v[60:61]
	v_add_f64_e64 v[86:87], v[62:63], -v[54:55]
	v_add_f64_e32 v[62:63], v[58:59], v[62:63]
	v_fma_f64 v[56:57], v[88:89], -0.5, v[56:57]
	v_add_f64_e64 v[60:61], v[60:61], -v[52:53]
	v_fma_f64 v[58:59], v[90:91], -0.5, v[58:59]
	v_add_f64_e32 v[114:115], v[64:65], v[48:49]
	v_add_f64_e32 v[116:117], v[66:67], v[50:51]
	v_mul_f64_e32 v[70:71], s[2:3], v[92:93]
	v_mul_f64_e32 v[88:89], -0.5, v[94:95]
	v_mul_f64_e32 v[90:91], s[8:9], v[74:75]
	v_mul_f64_e32 v[100:101], -0.5, v[72:73]
	v_fma_f64 v[80:81], v[80:81], -0.5, v[24:25]
	v_fma_f64 v[82:83], v[82:83], -0.5, v[26:27]
	v_mul_f64_e32 v[104:105], s[2:3], v[96:97]
	v_mul_f64_e32 v[106:107], -0.5, v[98:99]
	v_mul_f64_e32 v[108:109], s[8:9], v[78:79]
	v_mul_f64_e32 v[110:111], -0.5, v[76:77]
	v_add_f64_e32 v[84:85], v[84:85], v[52:53]
	v_add_f64_e32 v[112:113], v[62:63], v[54:55]
	v_fma_f64 v[118:119], v[86:87], s[2:3], v[56:57]
	v_fma_f64 v[86:87], v[86:87], s[8:9], v[56:57]
	;; [unrolled: 1-line block ×4, first 2 shown]
	v_fma_f64 v[124:125], v[74:75], 0.5, v[70:71]
	v_fma_f64 v[88:89], v[72:73], s[2:3], v[88:89]
	v_fma_f64 v[90:91], v[92:93], 0.5, v[90:91]
	v_fma_f64 v[92:93], v[94:95], s[8:9], v[100:101]
	v_fma_f64 v[48:49], v[68:69], s[2:3], v[80:81]
	;; [unrolled: 1-line block ×5, first 2 shown]
	v_fma_f64 v[50:51], v[78:79], 0.5, v[104:105]
	v_fma_f64 v[54:55], v[76:77], s[2:3], v[106:107]
	v_fma_f64 v[60:61], v[96:97], 0.5, v[108:109]
	v_fma_f64 v[62:63], v[98:99], s[8:9], v[110:111]
	v_add_f64_e32 v[64:65], v[84:85], v[114:115]
	v_add_f64_e32 v[66:67], v[112:113], v[116:117]
	v_add_f64_e64 v[68:69], v[84:85], -v[114:115]
	v_add_f64_e64 v[70:71], v[112:113], -v[116:117]
	s_load_b64 s[2:3], s[0:1], 0x8
	v_mul_lo_u16 v96, v183, 6
	s_delay_alu instid0(VALU_DEP_1) | instskip(NEXT) | instid1(VALU_DEP_1)
	v_and_b32_e32 v96, 0xffff, v96
	v_lshl_add_u32 v190, v96, 4, v185
	v_add_f64_e32 v[72:73], v[118:119], v[124:125]
	v_add_f64_e32 v[76:77], v[86:87], v[88:89]
	;; [unrolled: 1-line block ×4, first 2 shown]
	v_add_f64_e64 v[84:85], v[86:87], -v[88:89]
	v_add_f64_e64 v[82:83], v[120:121], -v[90:91]
	;; [unrolled: 1-line block ×8, first 2 shown]
	ds_store_b128 v190, v[64:67]
	ds_store_b128 v190, v[72:75] offset:16
	ds_store_b128 v190, v[76:79] offset:32
	;; [unrolled: 1-line block ×5, first 2 shown]
	s_and_saveexec_b32 s0, vcc_lo
	s_cbranch_execz .LBB0_7
; %bb.6:
	v_add_f64_e32 v[26:27], v[26:27], v[34:35]
	v_add_f64_e32 v[30:31], v[30:31], v[38:39]
	;; [unrolled: 1-line block ×4, first 2 shown]
	s_delay_alu instid0(VALU_DEP_4) | instskip(NEXT) | instid1(VALU_DEP_4)
	v_add_f64_e32 v[36:37], v[26:27], v[42:43]
	v_add_f64_e32 v[38:39], v[30:31], v[46:47]
	s_delay_alu instid0(VALU_DEP_4) | instskip(NEXT) | instid1(VALU_DEP_4)
	v_add_f64_e32 v[40:41], v[24:25], v[40:41]
	v_add_f64_e32 v[42:43], v[28:29], v[44:45]
	v_add_f64_e32 v[30:31], v[56:57], v[60:61]
	v_add_f64_e32 v[28:29], v[48:49], v[50:51]
	v_add_f64_e32 v[26:27], v[58:59], v[62:63]
	v_add_f64_e32 v[24:25], v[52:53], v[54:55]
	v_add_f64_e32 v[34:35], v[36:37], v[38:39]
	v_add_f64_e64 v[38:39], v[36:37], -v[38:39]
	v_add_f64_e32 v[32:33], v[40:41], v[42:43]
	v_add_f64_e64 v[36:37], v[40:41], -v[42:43]
	v_lshl_add_u32 v40, v189, 4, v185
	ds_store_b128 v40, v[32:35]
	ds_store_b128 v40, v[28:31] offset:16
	ds_store_b128 v40, v[24:27] offset:32
	;; [unrolled: 1-line block ×5, first 2 shown]
.LBB0_7:
	s_wait_alu 0xfffe
	s_or_b32 exec_lo, exec_lo, s0
	v_and_b32_e32 v24, 0xff, v183
	global_wb scope:SCOPE_SE
	s_wait_dscnt 0x0
	s_wait_kmcnt 0x0
	s_barrier_signal -1
	s_barrier_wait -1
	global_inv scope:SCOPE_SE
	v_mul_lo_u16 v24, 0xab, v24
	s_mov_b32 s8, 0x134454ff
	s_mov_b32 s9, 0x3fee6f0e
	;; [unrolled: 1-line block ×3, first 2 shown]
	s_wait_alu 0xfffe
	s_mov_b32 s0, s8
	v_lshrrev_b16 v60, 10, v24
	s_mov_b32 s16, 0x4755a5e
	s_mov_b32 s17, 0x3fe2cf23
	;; [unrolled: 1-line block ×4, first 2 shown]
	v_mul_lo_u16 v24, v60, 6
	s_mov_b32 s18, 0x372fe950
	s_mov_b32 s19, 0x3fd3c6ef
	;; [unrolled: 1-line block ×4, first 2 shown]
	v_sub_nc_u16 v24, v183, v24
	v_and_b32_e32 v60, 0xffff, v60
	s_delay_alu instid0(VALU_DEP_2) | instskip(NEXT) | instid1(VALU_DEP_2)
	v_and_b32_e32 v61, 0xff, v24
	v_mul_u32_u24_e32 v60, 60, v60
	s_delay_alu instid0(VALU_DEP_2) | instskip(NEXT) | instid1(VALU_DEP_2)
	v_mad_co_u64_u32 v[28:29], null, 0x90, v61, s[2:3]
	v_add_nc_u32_e32 v60, v60, v61
	s_clause 0x8
	global_load_b128 v[44:47], v[28:29], off offset:32
	global_load_b128 v[52:55], v[28:29], off offset:64
	;; [unrolled: 1-line block ×4, first 2 shown]
	global_load_b128 v[24:27], v[28:29], off
	global_load_b128 v[40:43], v[28:29], off offset:16
	global_load_b128 v[36:39], v[28:29], off offset:48
	;; [unrolled: 1-line block ×4, first 2 shown]
	ds_load_b128 v[62:65], v184 offset:5184
	ds_load_b128 v[66:69], v184 offset:8640
	;; [unrolled: 1-line block ×6, first 2 shown]
	v_lshl_add_u32 v191, v60, 4, v185
	s_wait_loadcnt_dscnt 0x805
	v_mul_f64_e32 v[86:87], v[64:65], v[46:47]
	s_wait_loadcnt_dscnt 0x704
	v_mul_f64_e32 v[98:99], v[68:69], v[54:55]
	v_mul_f64_e32 v[100:101], v[66:67], v[54:55]
	s_wait_loadcnt_dscnt 0x603
	v_mul_f64_e32 v[102:103], v[70:71], v[50:51]
	s_wait_loadcnt_dscnt 0x502
	v_mul_f64_e32 v[104:105], v[74:75], v[58:59]
	v_mul_f64_e32 v[108:109], v[72:73], v[50:51]
	;; [unrolled: 1-line block ×4, first 2 shown]
	s_wait_loadcnt_dscnt 0x401
	v_mul_f64_e32 v[110:111], v[80:81], v[26:27]
	v_mul_f64_e32 v[112:113], v[78:79], v[26:27]
	v_fma_f64 v[86:87], v[62:63], v[44:45], -v[86:87]
	v_fma_f64 v[98:99], v[66:67], v[52:53], -v[98:99]
	v_fma_f64 v[100:101], v[68:69], v[52:53], v[100:101]
	v_fma_f64 v[102:103], v[72:73], v[48:49], v[102:103]
	;; [unrolled: 1-line block ×3, first 2 shown]
	v_fma_f64 v[104:105], v[70:71], v[48:49], -v[108:109]
	v_fma_f64 v[96:97], v[64:65], v[44:45], v[96:97]
	v_fma_f64 v[74:75], v[74:75], v[56:57], -v[106:107]
	ds_load_b128 v[62:65], v184 offset:6912
	ds_load_b128 v[66:69], v184 offset:10368
	ds_load_b128 v[70:73], v184 offset:13824
	s_wait_loadcnt_dscnt 0x303
	v_mul_f64_e32 v[106:107], v[84:85], v[42:43]
	v_mul_f64_e32 v[108:109], v[82:83], v[42:43]
	v_fma_f64 v[78:79], v[78:79], v[24:25], -v[110:111]
	v_fma_f64 v[80:81], v[80:81], v[24:25], v[112:113]
	s_wait_loadcnt_dscnt 0x202
	v_mul_f64_e32 v[114:115], v[64:65], v[38:39]
	v_mul_f64_e32 v[116:117], v[62:63], v[38:39]
	s_wait_loadcnt_dscnt 0x101
	v_mul_f64_e32 v[118:119], v[68:69], v[34:35]
	s_wait_loadcnt_dscnt 0x0
	v_mul_f64_e32 v[120:121], v[72:73], v[30:31]
	v_mul_f64_e32 v[122:123], v[66:67], v[34:35]
	;; [unrolled: 1-line block ×3, first 2 shown]
	v_add_f64_e64 v[134:135], v[86:87], -v[98:99]
	v_add_f64_e64 v[138:139], v[98:99], -v[86:87]
	v_add_f64_e32 v[110:111], v[100:101], v[102:103]
	v_add_f64_e64 v[144:145], v[76:77], -v[102:103]
	v_add_f64_e32 v[128:129], v[98:99], v[104:105]
	v_add_f64_e32 v[112:113], v[96:97], v[76:77]
	;; [unrolled: 1-line block ×3, first 2 shown]
	v_add_f64_e64 v[136:137], v[74:75], -v[104:105]
	v_fma_f64 v[82:83], v[82:83], v[40:41], -v[106:107]
	v_fma_f64 v[84:85], v[84:85], v[40:41], v[108:109]
	v_add_f64_e64 v[140:141], v[104:105], -v[74:75]
	v_add_f64_e64 v[142:143], v[96:97], -v[100:101]
	;; [unrolled: 1-line block ×4, first 2 shown]
	v_fma_f64 v[106:107], v[62:63], v[36:37], -v[114:115]
	v_fma_f64 v[108:109], v[64:65], v[36:37], v[116:117]
	v_fma_f64 v[66:67], v[66:67], v[32:33], -v[118:119]
	v_fma_f64 v[70:71], v[70:71], v[28:29], -v[120:121]
	v_fma_f64 v[68:69], v[68:69], v[32:33], v[122:123]
	v_fma_f64 v[72:73], v[72:73], v[28:29], v[124:125]
	v_add_f64_e64 v[114:115], v[96:97], -v[76:77]
	v_add_f64_e64 v[118:119], v[86:87], -v[74:75]
	;; [unrolled: 1-line block ×4, first 2 shown]
	ds_load_b128 v[62:65], v184
	global_wb scope:SCOPE_SE
	s_wait_dscnt 0x0
	s_barrier_signal -1
	s_barrier_wait -1
	global_inv scope:SCOPE_SE
	v_fma_f64 v[110:111], v[110:111], -0.5, v[80:81]
	v_fma_f64 v[124:125], v[128:129], -0.5, v[78:79]
	;; [unrolled: 1-line block ×4, first 2 shown]
	v_add_f64_e32 v[78:79], v[78:79], v[86:87]
	v_add_f64_e32 v[80:81], v[80:81], v[96:97]
	;; [unrolled: 1-line block ×8, first 2 shown]
	v_add_f64_e64 v[160:161], v[84:85], -v[72:73]
	v_add_f64_e64 v[166:167], v[82:83], -v[70:71]
	;; [unrolled: 1-line block ×4, first 2 shown]
	s_wait_alu 0xfffe
	v_fma_f64 v[150:151], v[118:119], s[0:1], v[110:111]
	v_fma_f64 v[110:111], v[118:119], s[8:9], v[110:111]
	v_fma_f64 v[156:157], v[114:115], s[0:1], v[124:125]
	v_fma_f64 v[124:125], v[114:115], s[8:9], v[124:125]
	v_fma_f64 v[152:153], v[120:121], s[8:9], v[112:113]
	v_fma_f64 v[154:155], v[116:117], s[8:9], v[122:123]
	v_fma_f64 v[122:123], v[116:117], s[0:1], v[122:123]
	v_fma_f64 v[112:113], v[120:121], s[0:1], v[112:113]
	v_add_f64_e32 v[78:79], v[78:79], v[98:99]
	v_add_f64_e32 v[80:81], v[80:81], v[100:101]
	v_fma_f64 v[86:87], v[126:127], -0.5, v[62:63]
	v_fma_f64 v[62:63], v[128:129], -0.5, v[62:63]
	;; [unrolled: 1-line block ×3, first 2 shown]
	v_add_f64_e32 v[126:127], v[134:135], v[136:137]
	v_add_f64_e32 v[128:129], v[138:139], v[140:141]
	;; [unrolled: 1-line block ×3, first 2 shown]
	v_fma_f64 v[64:65], v[132:133], -0.5, v[64:65]
	v_add_f64_e32 v[132:133], v[146:147], v[148:149]
	v_add_f64_e64 v[142:143], v[72:73], -v[68:69]
	v_add_f64_e64 v[144:145], v[68:69], -v[72:73]
	v_fma_f64 v[134:135], v[120:121], s[14:15], v[150:151]
	v_fma_f64 v[110:111], v[120:121], s[16:17], v[110:111]
	;; [unrolled: 1-line block ×8, first 2 shown]
	v_add_f64_e64 v[118:119], v[82:83], -v[106:107]
	v_add_f64_e64 v[82:83], v[106:107], -v[82:83]
	;; [unrolled: 1-line block ×4, first 2 shown]
	v_add_f64_e32 v[106:107], v[158:159], v[106:107]
	v_add_f64_e32 v[108:109], v[164:165], v[108:109]
	v_add_f64_e64 v[120:121], v[70:71], -v[66:67]
	v_add_f64_e64 v[122:123], v[66:67], -v[70:71]
	v_add_f64_e32 v[78:79], v[78:79], v[104:105]
	v_add_f64_e32 v[80:81], v[80:81], v[102:103]
	v_fma_f64 v[98:99], v[160:161], s[8:9], v[86:87]
	v_fma_f64 v[100:101], v[162:163], s[0:1], v[62:63]
	;; [unrolled: 1-line block ×16, first 2 shown]
	v_add_f64_e32 v[84:85], v[84:85], v[144:145]
	v_add_f64_e32 v[66:67], v[106:107], v[66:67]
	;; [unrolled: 1-line block ×6, first 2 shown]
	v_fma_f64 v[98:99], v[162:163], s[16:17], v[98:99]
	v_fma_f64 v[100:101], v[160:161], s[16:17], v[100:101]
	;; [unrolled: 1-line block ×8, first 2 shown]
	v_mul_f64_e32 v[106:107], s[16:17], v[134:135]
	v_mul_f64_e32 v[132:133], s[20:21], v[110:111]
	;; [unrolled: 1-line block ×8, first 2 shown]
	v_add_f64_e32 v[66:67], v[66:67], v[70:71]
	v_add_f64_e32 v[68:69], v[68:69], v[72:73]
	;; [unrolled: 1-line block ×4, first 2 shown]
	v_fma_f64 v[98:99], v[118:119], s[18:19], v[98:99]
	v_fma_f64 v[100:101], v[82:83], s[18:19], v[100:101]
	;; [unrolled: 1-line block ×9, first 2 shown]
	v_fma_f64 v[110:111], v[110:111], s[16:17], -v[124:125]
	v_fma_f64 v[116:117], v[134:135], s[20:21], v[126:127]
	v_fma_f64 v[114:115], v[114:115], s[18:19], v[108:109]
	v_fma_f64 v[112:113], v[112:113], s[8:9], -v[122:123]
	v_fma_f64 v[122:123], v[136:137], s[18:19], v[128:129]
	v_fma_f64 v[124:125], v[138:139], s[0:1], -v[130:131]
	v_fma_f64 v[126:127], v[140:141], s[14:15], -v[132:133]
	v_add_f64_e32 v[62:63], v[66:67], v[70:71]
	v_add_f64_e32 v[64:65], v[68:69], v[72:73]
	v_add_f64_e64 v[66:67], v[66:67], -v[70:71]
	v_add_f64_e64 v[68:69], v[68:69], -v[72:73]
	v_add_f64_e32 v[70:71], v[98:99], v[106:107]
	v_add_f64_e64 v[108:109], v[98:99], -v[106:107]
	v_add_f64_e32 v[82:83], v[86:87], v[110:111]
	v_add_f64_e32 v[72:73], v[102:103], v[116:117]
	;; [unrolled: 1-line block ×7, first 2 shown]
	v_add_f64_e64 v[132:133], v[86:87], -v[110:111]
	v_add_f64_e64 v[110:111], v[102:103], -v[116:117]
	;; [unrolled: 1-line block ×7, first 2 shown]
	ds_store_b128 v191, v[62:65]
	ds_store_b128 v191, v[70:73] offset:96
	ds_store_b128 v191, v[74:77] offset:192
	ds_store_b128 v191, v[78:81] offset:288
	ds_store_b128 v191, v[82:85] offset:384
	ds_store_b128 v191, v[66:69] offset:480
	ds_store_b128 v191, v[108:111] offset:576
	ds_store_b128 v191, v[128:131] offset:672
	ds_store_b128 v191, v[112:115] offset:768
	ds_store_b128 v191, v[132:135] offset:864
	global_wb scope:SCOPE_SE
	s_wait_dscnt 0x0
	s_barrier_signal -1
	s_barrier_wait -1
	global_inv scope:SCOPE_SE
	ds_load_b128 v[116:119], v184
	ds_load_b128 v[136:139], v184 offset:2880
	ds_load_b128 v[120:123], v184 offset:5760
	;; [unrolled: 1-line block ×5, first 2 shown]
	s_and_saveexec_b32 s0, vcc_lo
	s_cbranch_execz .LBB0_9
; %bb.8:
	ds_load_b128 v[108:111], v184 offset:1728
	ds_load_b128 v[128:131], v184 offset:4608
	;; [unrolled: 1-line block ×6, first 2 shown]
.LBB0_9:
	s_wait_alu 0xfffe
	s_or_b32 exec_lo, exec_lo, s0
	v_and_b32_e32 v60, 0xff, v194
	v_subrev_nc_u32_e32 v61, 60, v183
	v_cmp_gt_u16_e64 s0, 60, v183
	s_mov_b32 s9, 0xbfebb67a
	s_delay_alu instid0(VALU_DEP_3) | instskip(SKIP_1) | instid1(VALU_DEP_2)
	v_mul_lo_u16 v60, 0x89, v60
	s_wait_alu 0xf1ff
	v_cndmask_b32_e64 v192, v61, v183, s0
	s_delay_alu instid0(VALU_DEP_2) | instskip(NEXT) | instid1(VALU_DEP_2)
	v_lshrrev_b16 v187, 13, v60
	v_mul_i32_i24_e32 v61, 0x50, v192
	v_mul_hi_i32_i24_e32 v62, 0x50, v192
	s_delay_alu instid0(VALU_DEP_3) | instskip(NEXT) | instid1(VALU_DEP_3)
	v_mul_lo_u16 v60, v187, 60
	v_add_co_u32 v64, s0, s2, v61
	s_wait_alu 0xf1ff
	s_delay_alu instid0(VALU_DEP_3) | instskip(NEXT) | instid1(VALU_DEP_3)
	v_add_co_ci_u32_e64 v65, s0, s3, v62, s0
	v_sub_nc_u16 v60, v194, v60
	s_mov_b32 s0, 0xe8584caa
	s_mov_b32 s1, 0x3febb67a
	global_load_b128 v[96:99], v[64:65], off offset:896
	s_wait_alu 0xfffe
	s_mov_b32 s8, s0
	v_and_b32_e32 v188, 0xff, v60
	s_delay_alu instid0(VALU_DEP_1)
	v_mad_co_u64_u32 v[66:67], null, 0x50, v188, s[2:3]
	s_clause 0x8
	global_load_b128 v[100:103], v[64:65], off offset:928
	global_load_b128 v[84:87], v[66:67], off offset:896
	;; [unrolled: 1-line block ×9, first 2 shown]
	global_wb scope:SCOPE_SE
	s_wait_loadcnt_dscnt 0x0
	s_barrier_signal -1
	s_barrier_wait -1
	global_inv scope:SCOPE_SE
	v_mul_f64_e32 v[148:149], v[142:143], v[98:99]
	v_mul_f64_e32 v[150:151], v[140:141], v[98:99]
	;; [unrolled: 1-line block ×12, first 2 shown]
	v_fma_f64 v[140:141], v[140:141], v[96:97], -v[148:149]
	v_fma_f64 v[142:143], v[142:143], v[96:97], v[150:151]
	v_mul_f64_e32 v[148:149], v[130:131], v[62:63]
	v_mul_f64_e32 v[150:151], v[128:129], v[62:63]
	v_fma_f64 v[146:147], v[146:147], v[100:101], v[152:153]
	v_fma_f64 v[144:145], v[144:145], v[100:101], -v[154:155]
	v_fma_f64 v[132:133], v[132:133], v[84:85], -v[156:157]
	v_fma_f64 v[134:135], v[134:135], v[84:85], v[158:159]
	v_fma_f64 v[94:95], v[94:95], v[104:105], v[160:161]
	v_fma_f64 v[152:153], v[92:93], v[104:105], -v[162:163]
	v_mul_f64_e32 v[92:93], v[122:123], v[82:83]
	v_mul_f64_e32 v[154:155], v[120:121], v[82:83]
	v_mul_f64_e32 v[156:157], v[126:127], v[78:79]
	v_mul_f64_e32 v[158:159], v[124:125], v[78:79]
	v_fma_f64 v[136:137], v[136:137], v[72:73], -v[164:165]
	v_fma_f64 v[138:139], v[138:139], v[72:73], v[166:167]
	v_mul_f64_e32 v[164:165], v[114:115], v[70:71]
	v_mul_f64_e32 v[166:167], v[112:113], v[70:71]
	v_fma_f64 v[88:89], v[88:89], v[64:65], -v[168:169]
	v_fma_f64 v[90:91], v[90:91], v[64:65], v[170:171]
	v_fma_f64 v[128:129], v[128:129], v[60:61], -v[148:149]
	v_fma_f64 v[130:131], v[130:131], v[60:61], v[150:151]
	v_add_f64_e32 v[160:161], v[142:143], v[146:147]
	v_add_f64_e32 v[162:163], v[140:141], v[144:145]
	;; [unrolled: 1-line block ×4, first 2 shown]
	v_fma_f64 v[92:93], v[120:121], v[80:81], -v[92:93]
	v_fma_f64 v[120:121], v[122:123], v[80:81], v[154:155]
	v_fma_f64 v[122:123], v[124:125], v[76:77], -v[156:157]
	v_fma_f64 v[124:125], v[126:127], v[76:77], v[158:159]
	v_add_f64_e64 v[126:127], v[142:143], -v[146:147]
	v_add_f64_e64 v[154:155], v[140:141], -v[144:145]
	v_fma_f64 v[112:113], v[112:113], v[68:69], -v[164:165]
	v_fma_f64 v[114:115], v[114:115], v[68:69], v[166:167]
	v_fma_f64 v[156:157], v[160:161], -0.5, v[138:139]
	v_fma_f64 v[158:159], v[162:163], -0.5, v[136:137]
	v_add_f64_e64 v[160:161], v[134:135], -v[94:95]
	v_add_f64_e64 v[162:163], v[132:133], -v[152:153]
	v_fma_f64 v[148:149], v[148:149], -0.5, v[130:131]
	v_fma_f64 v[150:151], v[150:151], -0.5, v[128:129]
	v_add_f64_e32 v[136:137], v[136:137], v[140:141]
	v_add_f64_e32 v[138:139], v[138:139], v[142:143]
	;; [unrolled: 1-line block ×8, first 2 shown]
	v_add_f64_e64 v[132:133], v[92:93], -v[122:123]
	s_wait_alu 0xfffe
	v_fma_f64 v[168:169], v[154:155], s[8:9], v[156:157]
	v_fma_f64 v[170:171], v[126:127], s[8:9], v[158:159]
	;; [unrolled: 1-line block ×4, first 2 shown]
	v_add_f64_e32 v[156:157], v[112:113], v[88:89]
	v_add_f64_e32 v[158:159], v[114:115], v[90:91]
	v_fma_f64 v[172:173], v[162:163], s[8:9], v[148:149]
	v_fma_f64 v[174:175], v[160:161], s[8:9], v[150:151]
	;; [unrolled: 1-line block ×4, first 2 shown]
	v_add_f64_e32 v[160:161], v[116:117], v[92:93]
	v_add_f64_e64 v[162:163], v[120:121], -v[124:125]
	v_add_f64_e32 v[120:121], v[118:119], v[120:121]
	v_fma_f64 v[116:117], v[164:165], -0.5, v[116:117]
	v_fma_f64 v[118:119], v[166:167], -0.5, v[118:119]
	v_add_f64_e64 v[114:115], v[114:115], -v[90:91]
	v_add_f64_e64 v[112:113], v[112:113], -v[88:89]
	v_add_f64_e32 v[136:137], v[136:137], v[144:145]
	v_add_f64_e32 v[138:139], v[138:139], v[146:147]
	v_add_f64_e32 v[88:89], v[140:141], v[88:89]
	v_add_f64_e32 v[92:93], v[142:143], v[90:91]
	v_add_f64_e32 v[90:91], v[128:129], v[152:153]
	v_mul_f64_e32 v[134:135], s[0:1], v[168:169]
	v_mul_f64_e32 v[164:165], -0.5, v[170:171]
	v_mul_f64_e32 v[166:167], s[8:9], v[126:127]
	v_mul_f64_e32 v[176:177], -0.5, v[154:155]
	v_fma_f64 v[108:109], v[156:157], -0.5, v[108:109]
	v_fma_f64 v[156:157], v[158:159], -0.5, v[110:111]
	v_mul_f64_e32 v[158:159], s[0:1], v[172:173]
	v_mul_f64_e32 v[178:179], -0.5, v[174:175]
	v_mul_f64_e32 v[195:196], s[8:9], v[150:151]
	v_mul_f64_e32 v[197:198], -0.5, v[148:149]
	v_add_f64_e32 v[160:161], v[160:161], v[122:123]
	v_add_f64_e32 v[110:111], v[130:131], v[94:95]
	;; [unrolled: 1-line block ×3, first 2 shown]
	v_fma_f64 v[152:153], v[162:163], s[0:1], v[116:117]
	v_fma_f64 v[162:163], v[162:163], s[8:9], v[116:117]
	;; [unrolled: 1-line block ×4, first 2 shown]
	v_add_f64_e64 v[132:133], v[88:89], -v[90:91]
	v_fma_f64 v[205:206], v[126:127], 0.5, v[134:135]
	v_fma_f64 v[154:155], v[154:155], s[0:1], v[164:165]
	v_fma_f64 v[164:165], v[168:169], 0.5, v[166:167]
	v_fma_f64 v[166:167], v[170:171], s[8:9], v[176:177]
	v_fma_f64 v[94:95], v[114:115], s[0:1], v[108:109]
	;; [unrolled: 1-line block ×5, first 2 shown]
	v_fma_f64 v[112:113], v[150:151], 0.5, v[158:159]
	v_fma_f64 v[114:115], v[148:149], s[0:1], v[178:179]
	v_fma_f64 v[120:121], v[172:173], 0.5, v[195:196]
	v_fma_f64 v[122:123], v[174:175], s[8:9], v[197:198]
	v_add_f64_e32 v[124:125], v[160:161], v[136:137]
	v_add_f64_e32 v[126:127], v[199:200], v[138:139]
	v_add_f64_e64 v[128:129], v[160:161], -v[136:137]
	v_add_f64_e64 v[130:131], v[199:200], -v[138:139]
	v_add_f64_e64 v[134:135], v[92:93], -v[110:111]
	v_cmp_lt_u16_e64 s0, 59, v183
	s_wait_alu 0xf1ff
	s_delay_alu instid0(VALU_DEP_1) | instskip(NEXT) | instid1(VALU_DEP_1)
	v_cndmask_b32_e64 v160, 0, 0x168, s0
	v_add_nc_u32_e32 v160, v192, v160
	s_delay_alu instid0(VALU_DEP_1)
	v_lshl_add_u32 v192, v160, 4, v185
	v_add_f64_e32 v[140:141], v[152:153], v[205:206]
	v_add_f64_e32 v[144:145], v[162:163], v[154:155]
	v_add_f64_e64 v[148:149], v[152:153], -v[205:206]
	v_add_f64_e64 v[156:157], v[162:163], -v[154:155]
	v_add_f64_e32 v[142:143], v[201:202], v[164:165]
	v_add_f64_e32 v[146:147], v[203:204], v[166:167]
	v_add_f64_e64 v[150:151], v[201:202], -v[164:165]
	v_add_f64_e64 v[158:159], v[203:204], -v[166:167]
	;; [unrolled: 1-line block ×6, first 2 shown]
	ds_store_b128 v192, v[124:127]
	ds_store_b128 v192, v[140:143] offset:960
	ds_store_b128 v192, v[144:147] offset:1920
	;; [unrolled: 1-line block ×5, first 2 shown]
	s_and_saveexec_b32 s0, vcc_lo
	s_cbranch_execz .LBB0_11
; %bb.10:
	v_add_f64_e32 v[92:93], v[92:93], v[110:111]
	v_add_f64_e32 v[90:91], v[88:89], v[90:91]
	;; [unrolled: 1-line block ×6, first 2 shown]
	v_and_b32_e32 v88, 0xffff, v187
	s_delay_alu instid0(VALU_DEP_1) | instskip(NEXT) | instid1(VALU_DEP_1)
	v_mul_u32_u24_e32 v88, 0x168, v88
	v_add_nc_u32_e32 v88, v88, v188
	s_delay_alu instid0(VALU_DEP_1)
	v_lshl_add_u32 v88, v88, 4, v185
	ds_store_b128 v88, v[90:93]
	ds_store_b128 v88, v[120:123] offset:960
	ds_store_b128 v88, v[116:119] offset:1920
	;; [unrolled: 1-line block ×5, first 2 shown]
.LBB0_11:
	s_wait_alu 0xfffe
	s_or_b32 exec_lo, exec_lo, s0
	global_wb scope:SCOPE_SE
	s_wait_dscnt 0x0
	s_barrier_signal -1
	s_barrier_wait -1
	global_inv scope:SCOPE_SE
	ds_load_b128 v[144:147], v184
	ds_load_b128 v[140:143], v184 offset:1728
	ds_load_b128 v[168:171], v184 offset:11520
	ds_load_b128 v[156:159], v184 offset:13248
	ds_load_b128 v[176:179], v184 offset:5760
	ds_load_b128 v[148:151], v184 offset:3456
	ds_load_b128 v[172:175], v184 offset:7488
	ds_load_b128 v[160:163], v184 offset:9216
	ds_load_b128 v[164:167], v184 offset:14976
	v_cmp_gt_u16_e64 s0, 36, v183
	s_delay_alu instid0(VALU_DEP_1)
	s_and_saveexec_b32 s1, s0
	s_cbranch_execz .LBB0_13
; %bb.12:
	ds_load_b128 v[132:135], v184 offset:5184
	ds_load_b128 v[136:139], v184 offset:10944
	;; [unrolled: 1-line block ×3, first 2 shown]
.LBB0_13:
	s_wait_alu 0xfffe
	s_or_b32 exec_lo, exec_lo, s1
	v_add_co_u32 v88, s1, 0x144, v183
	s_wait_alu 0xf1ff
	v_add_co_ci_u32_e64 v89, null, 0, 0, s1
	v_add_co_u32 v90, s1, 0xffffffdc, v183
	s_wait_alu 0xf1ff
	v_add_co_ci_u32_e64 v91, null, 0, -1, s1
	v_lshl_add_u32 v193, v193, 4, v186
	s_delay_alu instid0(VALU_DEP_3) | instskip(SKIP_1) | instid1(VALU_DEP_4)
	v_cndmask_b32_e64 v88, v90, v88, s0
	v_lshlrev_b32_e32 v90, 5, v183
	v_cndmask_b32_e64 v89, v91, v89, s0
	v_lshlrev_b32_e32 v91, 5, v194
	s_clause 0x3
	global_load_b128 v[112:115], v90, s[2:3] offset:5680
	global_load_b128 v[128:131], v90, s[2:3] offset:5664
	;; [unrolled: 1-line block ×4, first 2 shown]
	v_lshlrev_b64_e32 v[88:89], 5, v[88:89]
	v_add_nc_u32_e32 v90, 0x1b00, v90
	s_delay_alu instid0(VALU_DEP_2) | instskip(SKIP_1) | instid1(VALU_DEP_3)
	v_add_co_u32 v88, s1, s2, v88
	s_wait_alu 0xf1ff
	v_add_co_ci_u32_e64 v89, s1, s3, v89, s1
	s_clause 0x3
	global_load_b128 v[124:127], v90, s[2:3] offset:5664
	global_load_b128 v[120:123], v90, s[2:3] offset:5680
	global_load_b128 v[92:95], v[88:89], off offset:5664
	global_load_b128 v[88:91], v[88:89], off offset:5680
	s_mov_b32 s2, 0xe8584caa
	s_mov_b32 s3, 0x3febb67a
	s_wait_alu 0xfffe
	s_mov_b32 s8, s2
	s_wait_loadcnt_dscnt 0x706
	v_mul_f64_e32 v[196:197], v[170:171], v[114:115]
	s_wait_loadcnt_dscnt 0x604
	v_mul_f64_e32 v[194:195], v[178:179], v[130:131]
	v_mul_f64_e32 v[198:199], v[176:177], v[130:131]
	;; [unrolled: 1-line block ×3, first 2 shown]
	s_wait_loadcnt_dscnt 0x402
	v_mul_f64_e32 v[202:203], v[174:175], v[118:119]
	v_mul_f64_e32 v[204:205], v[158:159], v[110:111]
	;; [unrolled: 1-line block ×4, first 2 shown]
	s_wait_loadcnt_dscnt 0x301
	v_mul_f64_e32 v[210:211], v[162:163], v[126:127]
	s_wait_loadcnt_dscnt 0x200
	v_mul_f64_e32 v[212:213], v[166:167], v[122:123]
	v_mul_f64_e32 v[214:215], v[160:161], v[126:127]
	;; [unrolled: 1-line block ×3, first 2 shown]
	s_wait_loadcnt 0x1
	v_mul_f64_e32 v[218:219], v[138:139], v[94:95]
	s_wait_loadcnt 0x0
	v_mul_f64_e32 v[220:221], v[154:155], v[90:91]
	v_mul_f64_e32 v[222:223], v[136:137], v[94:95]
	;; [unrolled: 1-line block ×3, first 2 shown]
	v_fma_f64 v[168:169], v[168:169], v[112:113], -v[196:197]
	v_fma_f64 v[176:177], v[176:177], v[128:129], -v[194:195]
	v_fma_f64 v[178:179], v[178:179], v[128:129], v[198:199]
	v_fma_f64 v[170:171], v[170:171], v[112:113], v[200:201]
	v_fma_f64 v[172:173], v[172:173], v[116:117], -v[202:203]
	v_fma_f64 v[156:157], v[156:157], v[108:109], -v[204:205]
	v_fma_f64 v[174:175], v[174:175], v[116:117], v[206:207]
	v_fma_f64 v[158:159], v[158:159], v[108:109], v[208:209]
	;; [unrolled: 4-line block ×4, first 2 shown]
	v_add_f64_e32 v[152:153], v[176:177], v[168:169]
	v_add_f64_e32 v[210:211], v[144:145], v[176:177]
	;; [unrolled: 1-line block ×3, first 2 shown]
	v_add_f64_e64 v[212:213], v[178:179], -v[170:171]
	v_add_f64_e32 v[198:199], v[172:173], v[156:157]
	v_add_f64_e32 v[178:179], v[146:147], v[178:179]
	;; [unrolled: 1-line block ×5, first 2 shown]
	v_add_f64_e64 v[176:177], v[176:177], -v[168:169]
	v_add_f64_e64 v[174:175], v[174:175], -v[158:159]
	v_add_f64_e32 v[218:219], v[148:149], v[160:161]
	v_add_f64_e32 v[202:203], v[160:161], v[164:165]
	;; [unrolled: 1-line block ×8, first 2 shown]
	v_add_f64_e64 v[162:163], v[162:163], -v[166:167]
	v_add_f64_e64 v[160:161], v[160:161], -v[164:165]
	;; [unrolled: 1-line block ×3, first 2 shown]
	v_fma_f64 v[144:145], v[152:153], -0.5, v[144:145]
	v_fma_f64 v[146:147], v[154:155], -0.5, v[146:147]
	;; [unrolled: 1-line block ×3, first 2 shown]
	v_add_f64_e64 v[198:199], v[172:173], -v[156:157]
	v_fma_f64 v[142:143], v[200:201], -0.5, v[142:143]
	v_add_f64_e32 v[152:153], v[214:215], v[156:157]
	v_add_f64_e32 v[154:155], v[216:217], v[158:159]
	;; [unrolled: 1-line block ×3, first 2 shown]
	v_fma_f64 v[200:201], v[202:203], -0.5, v[148:149]
	v_fma_f64 v[202:203], v[204:205], -0.5, v[150:151]
	v_add_f64_e64 v[204:205], v[138:139], -v[196:197]
	v_fma_f64 v[206:207], v[206:207], -0.5, v[132:133]
	v_add_f64_e32 v[132:133], v[210:211], v[168:169]
	v_fma_f64 v[208:209], v[208:209], -0.5, v[134:135]
	v_add_f64_e32 v[134:135], v[178:179], v[170:171]
	v_add_f64_e32 v[138:139], v[220:221], v[166:167]
	v_add_f64_e32 v[148:149], v[222:223], v[194:195]
	v_add_f64_e32 v[150:151], v[224:225], v[196:197]
	ds_store_b128 v184, v[132:135]
	ds_store_b128 v184, v[152:155] offset:1728
	v_fma_f64 v[164:165], v[212:213], s[2:3], v[144:145]
	s_wait_alu 0xfffe
	v_fma_f64 v[168:169], v[212:213], s[8:9], v[144:145]
	v_fma_f64 v[166:167], v[176:177], s[8:9], v[146:147]
	;; [unrolled: 1-line block ×15, first 2 shown]
	ds_store_b128 v184, v[168:171] offset:11520
	ds_store_b128 v184, v[172:175] offset:7488
	;; [unrolled: 1-line block ×7, first 2 shown]
	s_and_saveexec_b32 s1, s0
	s_cbranch_execz .LBB0_15
; %bb.14:
	ds_store_b128 v184, v[148:151] offset:5184
	ds_store_b128 v184, v[156:159] offset:10944
	;; [unrolled: 1-line block ×3, first 2 shown]
.LBB0_15:
	s_wait_alu 0xfffe
	s_or_b32 exec_lo, exec_lo, s1
	s_add_nc_u64 s[2:3], s[12:13], 0x4380
	global_wb scope:SCOPE_SE
	s_wait_dscnt 0x0
	s_barrier_signal -1
	s_barrier_wait -1
	global_inv scope:SCOPE_SE
	s_clause 0x5
	global_load_b128 v[132:135], v[181:182], off offset:17280
	global_load_b128 v[152:155], v186, s[2:3] offset:2880
	global_load_b128 v[164:167], v186, s[2:3] offset:5760
	;; [unrolled: 1-line block ×5, first 2 shown]
	ds_load_b128 v[194:197], v184
	ds_load_b128 v[198:201], v184 offset:2880
	ds_load_b128 v[202:205], v184 offset:5760
	;; [unrolled: 1-line block ×5, first 2 shown]
	s_wait_loadcnt_dscnt 0x505
	v_mul_f64_e32 v[218:219], v[196:197], v[134:135]
	v_mul_f64_e32 v[134:135], v[194:195], v[134:135]
	s_wait_loadcnt_dscnt 0x404
	v_mul_f64_e32 v[220:221], v[200:201], v[154:155]
	v_mul_f64_e32 v[154:155], v[198:199], v[154:155]
	;; [unrolled: 3-line block ×6, first 2 shown]
	v_fma_f64 v[194:195], v[194:195], v[132:133], -v[218:219]
	v_fma_f64 v[196:197], v[196:197], v[132:133], v[134:135]
	v_fma_f64 v[132:133], v[198:199], v[152:153], -v[220:221]
	v_fma_f64 v[134:135], v[200:201], v[152:153], v[154:155]
	;; [unrolled: 2-line block ×6, first 2 shown]
	ds_store_b128 v184, v[194:197]
	ds_store_b128 v184, v[132:135] offset:2880
	ds_store_b128 v184, v[152:155] offset:5760
	;; [unrolled: 1-line block ×5, first 2 shown]
	s_and_saveexec_b32 s1, vcc_lo
	s_cbranch_execz .LBB0_17
; %bb.16:
	s_wait_alu 0xfffe
	v_add_co_u32 v176, s2, s2, v186
	s_wait_alu 0xf1ff
	v_add_co_ci_u32_e64 v177, null, s3, 0, s2
	s_clause 0x5
	global_load_b128 v[132:135], v[176:177], off offset:1728
	global_load_b128 v[152:155], v[176:177], off offset:4608
	;; [unrolled: 1-line block ×6, first 2 shown]
	ds_load_b128 v[194:197], v184 offset:1728
	ds_load_b128 v[198:201], v184 offset:4608
	;; [unrolled: 1-line block ×6, first 2 shown]
	s_wait_loadcnt_dscnt 0x505
	v_mul_f64_e32 v[218:219], v[196:197], v[134:135]
	v_mul_f64_e32 v[134:135], v[194:195], v[134:135]
	s_wait_loadcnt_dscnt 0x404
	v_mul_f64_e32 v[220:221], v[200:201], v[154:155]
	v_mul_f64_e32 v[154:155], v[198:199], v[154:155]
	;; [unrolled: 3-line block ×6, first 2 shown]
	v_fma_f64 v[194:195], v[194:195], v[132:133], -v[218:219]
	v_fma_f64 v[196:197], v[196:197], v[132:133], v[134:135]
	v_fma_f64 v[132:133], v[198:199], v[152:153], -v[220:221]
	v_fma_f64 v[134:135], v[200:201], v[152:153], v[154:155]
	;; [unrolled: 2-line block ×6, first 2 shown]
	ds_store_b128 v184, v[194:197] offset:1728
	ds_store_b128 v184, v[132:135] offset:4608
	;; [unrolled: 1-line block ×6, first 2 shown]
.LBB0_17:
	s_wait_alu 0xfffe
	s_or_b32 exec_lo, exec_lo, s1
	global_wb scope:SCOPE_SE
	s_wait_dscnt 0x0
	s_barrier_signal -1
	s_barrier_wait -1
	global_inv scope:SCOPE_SE
	ds_load_b128 v[164:167], v184
	ds_load_b128 v[168:171], v184 offset:2880
	ds_load_b128 v[176:179], v184 offset:5760
	ds_load_b128 v[172:175], v184 offset:8640
	ds_load_b128 v[152:155], v184 offset:11520
	ds_load_b128 v[132:135], v184 offset:14400
	s_and_saveexec_b32 s1, vcc_lo
	s_cbranch_execz .LBB0_19
; %bb.18:
	v_lshl_add_u32 v160, v183, 4, v185
	ds_load_b128 v[136:139], v184 offset:1728
	ds_load_b128 v[144:147], v184 offset:7488
	;; [unrolled: 1-line block ×6, first 2 shown]
.LBB0_19:
	s_wait_alu 0xfffe
	s_or_b32 exec_lo, exec_lo, s1
	s_wait_dscnt 0x0
	v_add_f64_e32 v[194:195], v[174:175], v[134:135]
	v_add_f64_e32 v[196:197], v[150:151], v[162:163]
	v_add_f64_e64 v[200:201], v[172:173], -v[132:133]
	v_add_f64_e32 v[202:203], v[148:149], v[160:161]
	v_add_f64_e64 v[204:205], v[148:149], -v[160:161]
	v_add_f64_e32 v[198:199], v[172:173], v[132:133]
	s_mov_b32 s2, 0xe8584caa
	s_mov_b32 s3, 0xbfebb67a
	;; [unrolled: 1-line block ×3, first 2 shown]
	s_wait_alu 0xfffe
	s_mov_b32 s8, s2
	v_add_f64_e32 v[206:207], v[176:177], v[152:153]
	v_add_f64_e32 v[208:209], v[178:179], v[154:155]
	;; [unrolled: 1-line block ×3, first 2 shown]
	v_add_f64_e64 v[216:217], v[150:151], -v[162:163]
	v_add_f64_e64 v[210:211], v[174:175], -v[134:135]
	v_add_f64_e64 v[220:221], v[178:179], -v[154:155]
	v_add_f64_e32 v[178:179], v[166:167], v[178:179]
	global_wb scope:SCOPE_SE
	s_barrier_signal -1
	s_barrier_wait -1
	global_inv scope:SCOPE_SE
	v_fma_f64 v[194:195], v[194:195], -0.5, v[170:171]
	v_fma_f64 v[196:197], v[196:197], -0.5, v[142:143]
	v_add_f64_e32 v[170:171], v[170:171], v[174:175]
	v_fma_f64 v[202:203], v[202:203], -0.5, v[140:141]
	v_add_f64_e64 v[174:175], v[144:145], -v[156:157]
	v_fma_f64 v[198:199], v[198:199], -0.5, v[168:169]
	v_add_f64_e32 v[168:169], v[168:169], v[172:173]
	v_add_f64_e64 v[172:173], v[146:147], -v[158:159]
	v_fma_f64 v[166:167], v[208:209], -0.5, v[166:167]
	v_fma_f64 v[214:215], v[214:215], -0.5, v[138:139]
	v_add_f64_e32 v[154:155], v[178:179], v[154:155]
	s_wait_alu 0xfffe
	v_fma_f64 v[212:213], v[200:201], s[8:9], v[194:195]
	v_fma_f64 v[194:195], v[200:201], s[2:3], v[194:195]
	v_add_f64_e32 v[200:201], v[144:145], v[156:157]
	v_fma_f64 v[218:219], v[204:205], s[8:9], v[196:197]
	v_fma_f64 v[196:197], v[204:205], s[2:3], v[196:197]
	v_add_f64_e32 v[204:205], v[164:165], v[176:177]
	v_add_f64_e64 v[176:177], v[176:177], -v[152:153]
	v_fma_f64 v[164:165], v[206:207], -0.5, v[164:165]
	v_fma_f64 v[222:223], v[216:217], s[2:3], v[202:203]
	v_fma_f64 v[202:203], v[216:217], s[8:9], v[202:203]
	;; [unrolled: 1-line block ×4, first 2 shown]
	v_add_f64_e32 v[132:133], v[168:169], v[132:133]
	v_add_f64_e32 v[134:135], v[170:171], v[134:135]
	v_mul_f64_e32 v[208:209], s[2:3], v[212:213]
	v_mul_f64_e32 v[212:213], 0.5, v[212:213]
	v_fma_f64 v[200:201], v[200:201], -0.5, v[136:137]
	v_mul_f64_e32 v[216:217], s[2:3], v[218:219]
	v_mul_f64_e32 v[224:225], s[2:3], v[196:197]
	v_mul_f64_e32 v[218:219], 0.5, v[218:219]
	v_mul_f64_e32 v[196:197], -0.5, v[196:197]
	v_mul_f64_e32 v[210:211], s[2:3], v[194:195]
	v_mul_f64_e32 v[194:195], -0.5, v[194:195]
	v_add_f64_e32 v[152:153], v[204:205], v[152:153]
	v_fma_f64 v[226:227], v[220:221], s[2:3], v[164:165]
	v_fma_f64 v[220:221], v[220:221], s[8:9], v[164:165]
	;; [unrolled: 1-line block ×4, first 2 shown]
	v_fma_f64 v[232:233], v[206:207], 0.5, v[208:209]
	v_fma_f64 v[212:213], v[206:207], s[8:9], v[212:213]
	v_fma_f64 v[164:165], v[172:173], s[2:3], v[200:201]
	;; [unrolled: 1-line block ×5, first 2 shown]
	v_fma_f64 v[166:167], v[222:223], 0.5, v[216:217]
	v_fma_f64 v[170:171], v[202:203], -0.5, v[224:225]
	v_fma_f64 v[176:177], v[222:223], s[8:9], v[218:219]
	v_fma_f64 v[178:179], v[202:203], s[8:9], v[196:197]
	v_fma_f64 v[234:235], v[198:199], -0.5, v[210:211]
	v_fma_f64 v[236:237], v[198:199], s[8:9], v[194:195]
	v_add_f64_e32 v[194:195], v[152:153], v[132:133]
	v_add_f64_e32 v[196:197], v[154:155], v[134:135]
	v_add_f64_e64 v[198:199], v[152:153], -v[132:133]
	v_add_f64_e64 v[200:201], v[154:155], -v[134:135]
	v_add_f64_e32 v[202:203], v[226:227], v[232:233]
	v_add_f64_e32 v[204:205], v[228:229], v[212:213]
	v_add_f64_e64 v[210:211], v[226:227], -v[232:233]
	v_add_f64_e64 v[212:213], v[228:229], -v[212:213]
	;; [unrolled: 1-line block ×6, first 2 shown]
	v_add_f64_e32 v[206:207], v[220:221], v[234:235]
	v_add_f64_e32 v[208:209], v[230:231], v[236:237]
	v_add_f64_e64 v[214:215], v[220:221], -v[234:235]
	v_add_f64_e64 v[216:217], v[230:231], -v[236:237]
	ds_store_b128 v190, v[194:197]
	ds_store_b128 v190, v[202:205] offset:16
	ds_store_b128 v190, v[206:209] offset:32
	;; [unrolled: 1-line block ×5, first 2 shown]
	s_and_saveexec_b32 s1, vcc_lo
	s_cbranch_execz .LBB0_21
; %bb.20:
	v_add_f64_e32 v[138:139], v[138:139], v[146:147]
	v_add_f64_e32 v[142:143], v[142:143], v[150:151]
	;; [unrolled: 1-line block ×4, first 2 shown]
	s_delay_alu instid0(VALU_DEP_4) | instskip(NEXT) | instid1(VALU_DEP_4)
	v_add_f64_e32 v[148:149], v[138:139], v[158:159]
	v_add_f64_e32 v[150:151], v[142:143], v[162:163]
	s_delay_alu instid0(VALU_DEP_4) | instskip(NEXT) | instid1(VALU_DEP_4)
	v_add_f64_e32 v[156:157], v[136:137], v[156:157]
	v_add_f64_e32 v[158:159], v[140:141], v[160:161]
	;; [unrolled: 1-line block ×7, first 2 shown]
	v_add_f64_e64 v[150:151], v[148:149], -v[150:151]
	v_add_f64_e32 v[144:145], v[156:157], v[158:159]
	v_add_f64_e64 v[148:149], v[156:157], -v[158:159]
	v_lshl_add_u32 v156, v189, 4, v185
	ds_store_b128 v156, v[144:147]
	ds_store_b128 v156, v[140:143] offset:16
	ds_store_b128 v156, v[136:139] offset:32
	;; [unrolled: 1-line block ×5, first 2 shown]
.LBB0_21:
	s_wait_alu 0xfffe
	s_or_b32 exec_lo, exec_lo, s1
	global_wb scope:SCOPE_SE
	s_wait_dscnt 0x0
	s_barrier_signal -1
	s_barrier_wait -1
	global_inv scope:SCOPE_SE
	ds_load_b128 v[136:139], v184 offset:5184
	ds_load_b128 v[140:143], v184 offset:8640
	;; [unrolled: 1-line block ×6, first 2 shown]
	s_mov_b32 s12, 0x134454ff
	s_mov_b32 s13, 0xbfee6f0e
	;; [unrolled: 1-line block ×3, first 2 shown]
	s_wait_alu 0xfffe
	s_mov_b32 s2, s12
	s_mov_b32 s16, 0x4755a5e
	;; [unrolled: 1-line block ×4, first 2 shown]
	s_wait_alu 0xfffe
	s_mov_b32 s8, s16
	s_mov_b32 s14, 0x372fe950
	;; [unrolled: 1-line block ×6, first 2 shown]
	s_wait_alu 0xfffe
	s_mov_b32 s20, s14
	s_mov_b32 s23, 0xbfe9e377
	s_wait_dscnt 0x5
	v_mul_f64_e32 v[164:165], v[46:47], v[136:137]
	s_wait_dscnt 0x4
	v_mul_f64_e32 v[166:167], v[54:55], v[140:141]
	;; [unrolled: 2-line block ×5, first 2 shown]
	v_mul_f64_e32 v[46:47], v[46:47], v[138:139]
	v_mul_f64_e32 v[54:55], v[54:55], v[142:143]
	;; [unrolled: 1-line block ×4, first 2 shown]
	s_wait_dscnt 0x0
	v_mul_f64_e32 v[178:179], v[42:43], v[162:163]
	v_mul_f64_e32 v[42:43], v[42:43], v[160:161]
	;; [unrolled: 1-line block ×3, first 2 shown]
	s_mov_b32 s22, s18
	v_fma_f64 v[138:139], v[44:45], v[138:139], -v[164:165]
	v_fma_f64 v[142:143], v[52:53], v[142:143], -v[166:167]
	;; [unrolled: 1-line block ×4, first 2 shown]
	ds_load_b128 v[164:167], v184 offset:6912
	ds_load_b128 v[168:171], v184 offset:10368
	;; [unrolled: 1-line block ×3, first 2 shown]
	v_fma_f64 v[44:45], v[44:45], v[136:137], v[46:47]
	v_fma_f64 v[46:47], v[52:53], v[140:141], v[54:55]
	;; [unrolled: 1-line block ×4, first 2 shown]
	v_fma_f64 v[52:53], v[24:25], v[158:159], -v[176:177]
	v_fma_f64 v[58:59], v[40:41], v[160:161], v[178:179]
	v_fma_f64 v[40:41], v[40:41], v[162:163], -v[42:43]
	s_wait_dscnt 0x2
	v_mul_f64_e32 v[189:190], v[38:39], v[166:167]
	v_mul_f64_e32 v[38:39], v[38:39], v[164:165]
	s_wait_dscnt 0x1
	v_mul_f64_e32 v[194:195], v[34:35], v[170:171]
	s_wait_dscnt 0x0
	v_mul_f64_e32 v[196:197], v[30:31], v[174:175]
	v_mul_f64_e32 v[34:35], v[34:35], v[168:169]
	;; [unrolled: 1-line block ×3, first 2 shown]
	v_add_f64_e32 v[54:55], v[142:143], v[146:147]
	v_add_f64_e32 v[56:57], v[138:139], v[150:151]
	v_add_f64_e64 v[200:201], v[44:45], -v[46:47]
	v_add_f64_e64 v[148:149], v[46:47], -v[48:49]
	v_add_f64_e32 v[140:141], v[44:45], v[50:51]
	v_add_f64_e64 v[144:145], v[44:45], -v[50:51]
	v_add_f64_e64 v[202:203], v[50:51], -v[48:49]
	v_add_f64_e64 v[204:205], v[48:49], -v[50:51]
	v_fma_f64 v[42:43], v[36:37], v[164:165], v[189:190]
	v_fma_f64 v[36:37], v[36:37], v[166:167], -v[38:39]
	v_fma_f64 v[38:39], v[32:33], v[168:169], v[194:195]
	v_fma_f64 v[136:137], v[28:29], v[172:173], v[196:197]
	v_fma_f64 v[32:33], v[32:33], v[170:171], -v[34:35]
	v_fma_f64 v[28:29], v[28:29], v[174:175], -v[30:31]
	v_fma_f64 v[30:31], v[24:25], v[156:157], v[26:27]
	v_add_f64_e32 v[34:35], v[46:47], v[48:49]
	v_add_f64_e64 v[164:165], v[138:139], -v[150:151]
	v_add_f64_e64 v[166:167], v[138:139], -v[142:143]
	;; [unrolled: 1-line block ×6, first 2 shown]
	ds_load_b128 v[24:27], v184
	global_wb scope:SCOPE_SE
	s_wait_dscnt 0x0
	s_barrier_signal -1
	s_barrier_wait -1
	v_fma_f64 v[54:55], v[54:55], -0.5, v[52:53]
	v_fma_f64 v[56:57], v[56:57], -0.5, v[52:53]
	v_add_f64_e32 v[52:53], v[52:53], v[138:139]
	global_inv scope:SCOPE_SE
	v_add_f64_e32 v[189:190], v[24:25], v[58:59]
	v_add_f64_e32 v[198:199], v[26:27], v[40:41]
	v_add_f64_e64 v[206:207], v[40:41], -v[36:37]
	v_add_f64_e32 v[156:157], v[42:43], v[38:39]
	v_add_f64_e32 v[158:159], v[58:59], v[136:137]
	;; [unrolled: 1-line block ×4, first 2 shown]
	v_fma_f64 v[140:141], v[140:141], -0.5, v[30:31]
	v_fma_f64 v[34:35], v[34:35], -0.5, v[30:31]
	v_add_f64_e32 v[30:31], v[30:31], v[44:45]
	v_add_f64_e64 v[194:195], v[40:41], -v[28:29]
	v_add_f64_e64 v[196:197], v[36:37], -v[32:33]
	;; [unrolled: 1-line block ×6, first 2 shown]
	v_fma_f64 v[176:177], v[144:145], s[2:3], v[54:55]
	v_fma_f64 v[178:179], v[148:149], s[12:13], v[56:57]
	;; [unrolled: 1-line block ×4, first 2 shown]
	v_add_f64_e32 v[52:53], v[52:53], v[142:143]
	v_add_f64_e32 v[36:37], v[198:199], v[36:37]
	v_fma_f64 v[138:139], v[156:157], -0.5, v[24:25]
	v_add_f64_e64 v[156:157], v[58:59], -v[136:137]
	v_fma_f64 v[24:25], v[158:159], -0.5, v[24:25]
	v_add_f64_e64 v[158:159], v[42:43], -v[38:39]
	v_fma_f64 v[160:161], v[160:161], -0.5, v[26:27]
	v_fma_f64 v[26:27], v[162:163], -0.5, v[26:27]
	v_add_f64_e32 v[162:163], v[166:167], v[168:169]
	v_add_f64_e32 v[166:167], v[170:171], v[172:173]
	v_fma_f64 v[168:169], v[164:165], s[12:13], v[34:35]
	v_fma_f64 v[34:35], v[164:165], s[2:3], v[34:35]
	;; [unrolled: 1-line block ×4, first 2 shown]
	v_add_f64_e32 v[30:31], v[30:31], v[46:47]
	v_add_f64_e32 v[46:47], v[200:201], v[202:203]
	;; [unrolled: 1-line block ×4, first 2 shown]
	v_fma_f64 v[172:173], v[148:149], s[8:9], v[176:177]
	v_fma_f64 v[176:177], v[144:145], s[8:9], v[178:179]
	v_fma_f64 v[56:57], v[144:145], s[16:17], v[56:57]
	v_fma_f64 v[54:55], v[148:149], s[16:17], v[54:55]
	v_add_f64_e64 v[144:145], v[58:59], -v[42:43]
	v_add_f64_e64 v[58:59], v[42:43], -v[58:59]
	v_add_f64_e32 v[42:43], v[189:190], v[42:43]
	v_add_f64_e64 v[148:149], v[136:137], -v[38:39]
	v_add_f64_e64 v[178:179], v[38:39], -v[136:137]
	v_add_f64_e32 v[32:33], v[36:37], v[32:33]
	v_add_f64_e32 v[36:37], v[52:53], v[146:147]
	v_fma_f64 v[142:143], v[194:195], s[12:13], v[138:139]
	v_fma_f64 v[138:139], v[194:195], s[2:3], v[138:139]
	v_fma_f64 v[189:190], v[196:197], s[2:3], v[24:25]
	v_fma_f64 v[24:25], v[196:197], s[12:13], v[24:25]
	v_fma_f64 v[198:199], v[156:157], s[2:3], v[160:161]
	v_fma_f64 v[200:201], v[158:159], s[12:13], v[26:27]
	v_fma_f64 v[26:27], v[158:159], s[2:3], v[26:27]
	v_fma_f64 v[160:161], v[156:157], s[12:13], v[160:161]
	v_fma_f64 v[168:169], v[174:175], s[16:17], v[168:169]
	v_fma_f64 v[34:35], v[174:175], s[8:9], v[34:35]
	v_fma_f64 v[170:171], v[164:165], s[16:17], v[170:171]
	v_fma_f64 v[140:141], v[164:165], s[8:9], v[140:141]
	v_add_f64_e32 v[30:31], v[30:31], v[48:49]
	v_fma_f64 v[164:165], v[162:163], s[14:15], v[172:173]
	v_fma_f64 v[172:173], v[166:167], s[14:15], v[176:177]
	;; [unrolled: 1-line block ×4, first 2 shown]
	v_add_f64_e32 v[38:39], v[42:43], v[38:39]
	v_add_f64_e32 v[144:145], v[144:145], v[148:149]
	;; [unrolled: 1-line block ×6, first 2 shown]
	v_fma_f64 v[42:43], v[196:197], s[16:17], v[142:143]
	v_fma_f64 v[48:49], v[196:197], s[8:9], v[138:139]
	;; [unrolled: 1-line block ×12, first 2 shown]
	v_add_f64_e32 v[30:31], v[30:31], v[50:51]
	v_mul_f64_e32 v[140:141], s[16:17], v[164:165]
	v_mul_f64_e32 v[164:165], s[18:19], v[164:165]
	;; [unrolled: 1-line block ×6, first 2 shown]
	s_wait_alu 0xfffe
	v_mul_f64_e32 v[56:57], s[20:21], v[56:57]
	v_mul_f64_e32 v[54:55], s[22:23], v[54:55]
	v_add_f64_e32 v[136:137], v[38:39], v[136:137]
	v_add_f64_e32 v[38:39], v[28:29], v[32:33]
	v_fma_f64 v[150:151], v[144:145], s[14:15], v[42:43]
	v_fma_f64 v[144:145], v[144:145], s[14:15], v[48:49]
	;; [unrolled: 1-line block ×6, first 2 shown]
	v_add_f64_e64 v[42:43], v[28:29], -v[32:33]
	v_fma_f64 v[142:143], v[148:149], s[14:15], v[142:143]
	v_fma_f64 v[148:149], v[40:41], s[14:15], v[26:27]
	;; [unrolled: 1-line block ×10, first 2 shown]
	v_add_f64_e32 v[36:37], v[136:137], v[30:31]
	v_add_f64_e64 v[40:41], v[136:137], -v[30:31]
	v_add_f64_e32 v[44:45], v[150:151], v[24:25]
	v_add_f64_e32 v[46:47], v[170:171], v[156:157]
	;; [unrolled: 1-line block ×8, first 2 shown]
	v_add_f64_e64 v[24:25], v[150:151], -v[24:25]
	v_add_f64_e64 v[28:29], v[52:53], -v[26:27]
	;; [unrolled: 1-line block ×8, first 2 shown]
	ds_store_b128 v191, v[36:39]
	ds_store_b128 v191, v[44:47] offset:96
	ds_store_b128 v191, v[48:51] offset:192
	;; [unrolled: 1-line block ×9, first 2 shown]
	global_wb scope:SCOPE_SE
	s_wait_dscnt 0x0
	s_barrier_signal -1
	s_barrier_wait -1
	global_inv scope:SCOPE_SE
	ds_load_b128 v[36:39], v184
	ds_load_b128 v[40:43], v184 offset:2880
	ds_load_b128 v[44:47], v184 offset:5760
	;; [unrolled: 1-line block ×5, first 2 shown]
	s_and_saveexec_b32 s1, vcc_lo
	s_cbranch_execz .LBB0_23
; %bb.22:
	ds_load_b128 v[24:27], v184 offset:1728
	ds_load_b128 v[28:31], v184 offset:4608
	;; [unrolled: 1-line block ×6, first 2 shown]
.LBB0_23:
	s_wait_alu 0xfffe
	s_or_b32 exec_lo, exec_lo, s1
	s_wait_dscnt 0x2
	v_mul_f64_e32 v[140:141], v[98:99], v[56:57]
	s_wait_dscnt 0x0
	v_mul_f64_e32 v[142:143], v[102:103], v[136:137]
	v_mul_f64_e32 v[144:145], v[86:87], v[52:53]
	;; [unrolled: 1-line block ×9, first 2 shown]
	s_mov_b32 s2, 0xe8584caa
	s_mov_b32 s3, 0xbfebb67a
	;; [unrolled: 1-line block ×3, first 2 shown]
	s_wait_alu 0xfffe
	s_mov_b32 s8, s2
	global_wb scope:SCOPE_SE
	s_barrier_signal -1
	s_barrier_wait -1
	global_inv scope:SCOPE_SE
	v_fma_f64 v[58:59], v[96:97], v[58:59], -v[140:141]
	v_fma_f64 v[138:139], v[100:101], v[138:139], -v[142:143]
	v_mul_f64_e32 v[140:141], v[62:63], v[28:29]
	v_fma_f64 v[54:55], v[84:85], v[54:55], -v[144:145]
	v_fma_f64 v[142:143], v[104:105], v[154:155], -v[146:147]
	v_mul_f64_e32 v[144:145], v[82:83], v[46:47]
	v_mul_f64_e32 v[82:83], v[82:83], v[44:45]
	;; [unrolled: 1-line block ×5, first 2 shown]
	v_fma_f64 v[56:57], v[96:97], v[56:57], v[98:99]
	v_fma_f64 v[96:97], v[100:101], v[136:137], v[102:103]
	v_fma_f64 v[42:43], v[72:73], v[42:43], -v[148:149]
	v_mul_f64_e32 v[100:101], v[70:71], v[34:35]
	v_mul_f64_e32 v[70:71], v[70:71], v[32:33]
	;; [unrolled: 1-line block ×4, first 2 shown]
	v_fma_f64 v[52:53], v[84:85], v[52:53], v[86:87]
	v_fma_f64 v[84:85], v[104:105], v[152:153], v[106:107]
	;; [unrolled: 1-line block ×3, first 2 shown]
	v_add_f64_e32 v[98:99], v[58:59], v[138:139]
	v_fma_f64 v[30:31], v[60:61], v[30:31], -v[140:141]
	v_add_f64_e32 v[86:87], v[54:55], v[142:143]
	v_fma_f64 v[44:45], v[80:81], v[44:45], v[144:145]
	v_fma_f64 v[46:47], v[80:81], v[46:47], -v[82:83]
	v_fma_f64 v[48:49], v[76:77], v[48:49], v[146:147]
	v_fma_f64 v[50:51], v[76:77], v[50:51], -v[78:79]
	v_fma_f64 v[28:29], v[60:61], v[28:29], v[62:63]
	v_add_f64_e64 v[80:81], v[58:59], -v[138:139]
	v_add_f64_e32 v[72:73], v[56:57], v[96:97]
	v_add_f64_e64 v[74:75], v[56:57], -v[96:97]
	v_fma_f64 v[32:33], v[68:69], v[32:33], v[100:101]
	v_fma_f64 v[34:35], v[68:69], v[34:35], -v[70:71]
	v_fma_f64 v[68:69], v[64:65], v[132:133], v[102:103]
	v_fma_f64 v[64:65], v[64:65], v[134:135], -v[66:67]
	v_add_f64_e32 v[60:61], v[52:53], v[84:85]
	v_add_f64_e64 v[62:63], v[52:53], -v[84:85]
	v_fma_f64 v[76:77], v[98:99], -0.5, v[42:43]
	v_add_f64_e64 v[98:99], v[54:55], -v[142:143]
	v_add_f64_e32 v[42:43], v[42:43], v[58:59]
	v_fma_f64 v[66:67], v[86:87], -0.5, v[30:31]
	v_add_f64_e32 v[30:31], v[30:31], v[54:55]
	v_add_f64_e32 v[70:71], v[44:45], v[48:49]
	v_add_f64_e32 v[78:79], v[46:47], v[50:51]
	v_add_f64_e64 v[102:103], v[46:47], -v[50:51]
	v_add_f64_e32 v[46:47], v[38:39], v[46:47]
	v_fma_f64 v[72:73], v[72:73], -0.5, v[40:41]
	v_add_f64_e32 v[40:41], v[40:41], v[56:57]
	v_add_f64_e32 v[56:57], v[24:25], v[32:33]
	;; [unrolled: 1-line block ×3, first 2 shown]
	v_add_f64_e64 v[58:59], v[34:35], -v[64:65]
	v_fma_f64 v[60:61], v[60:61], -0.5, v[28:29]
	v_add_f64_e32 v[34:35], v[26:27], v[34:35]
	v_add_f64_e32 v[28:29], v[28:29], v[52:53]
	s_wait_alu 0xfffe
	v_fma_f64 v[82:83], v[74:75], s[8:9], v[76:77]
	v_fma_f64 v[74:75], v[74:75], s[2:3], v[76:77]
	v_add_f64_e32 v[76:77], v[32:33], v[68:69]
	v_fma_f64 v[100:101], v[62:63], s[8:9], v[66:67]
	v_fma_f64 v[62:63], v[62:63], s[2:3], v[66:67]
	v_add_f64_e32 v[66:67], v[36:37], v[44:45]
	v_add_f64_e64 v[44:45], v[44:45], -v[48:49]
	v_add_f64_e64 v[32:33], v[32:33], -v[68:69]
	v_fma_f64 v[52:53], v[70:71], -0.5, v[36:37]
	v_fma_f64 v[54:55], v[78:79], -0.5, v[38:39]
	v_fma_f64 v[70:71], v[80:81], s[2:3], v[72:73]
	v_fma_f64 v[72:73], v[80:81], s[8:9], v[72:73]
	v_add_f64_e32 v[104:105], v[46:47], v[50:51]
	v_add_f64_e32 v[96:97], v[40:41], v[96:97]
	;; [unrolled: 1-line block ×3, first 2 shown]
	v_fma_f64 v[26:27], v[86:87], -0.5, v[26:27]
	v_add_f64_e32 v[36:37], v[56:57], v[68:69]
	v_add_f64_e32 v[46:47], v[30:31], v[142:143]
	;; [unrolled: 1-line block ×4, first 2 shown]
	v_mul_f64_e32 v[78:79], s[2:3], v[82:83]
	v_mul_f64_e32 v[80:81], s[2:3], v[74:75]
	v_mul_f64_e32 v[82:83], 0.5, v[82:83]
	v_fma_f64 v[24:25], v[76:77], -0.5, v[24:25]
	v_fma_f64 v[76:77], v[98:99], s[2:3], v[60:61]
	v_fma_f64 v[60:61], v[98:99], s[8:9], v[60:61]
	v_mul_f64_e32 v[86:87], s[2:3], v[100:101]
	v_mul_f64_e32 v[98:99], s[2:3], v[62:63]
	v_mul_f64_e32 v[100:101], 0.5, v[100:101]
	v_mul_f64_e32 v[62:63], -0.5, v[62:63]
	v_mul_f64_e32 v[74:75], -0.5, v[74:75]
	v_add_f64_e32 v[66:67], v[66:67], v[48:49]
	v_fma_f64 v[28:29], v[102:103], s[2:3], v[52:53]
	v_fma_f64 v[30:31], v[102:103], s[8:9], v[52:53]
	;; [unrolled: 1-line block ×6, first 2 shown]
	v_add_f64_e64 v[26:27], v[40:41], -v[46:47]
	v_fma_f64 v[78:79], v[70:71], 0.5, v[78:79]
	v_fma_f64 v[80:81], v[72:73], -0.5, v[80:81]
	v_fma_f64 v[82:83], v[70:71], s[8:9], v[82:83]
	v_fma_f64 v[42:43], v[58:59], s[2:3], v[24:25]
	;; [unrolled: 1-line block ×3, first 2 shown]
	v_add_f64_e64 v[24:25], v[36:37], -v[38:39]
	v_fma_f64 v[48:49], v[76:77], 0.5, v[86:87]
	v_fma_f64 v[50:51], v[60:61], -0.5, v[98:99]
	v_fma_f64 v[56:57], v[76:77], s[8:9], v[100:101]
	v_fma_f64 v[58:59], v[60:61], s[8:9], v[62:63]
	v_fma_f64 v[102:103], v[72:73], s[8:9], v[74:75]
	v_add_f64_e32 v[60:61], v[66:67], v[96:97]
	v_add_f64_e32 v[62:63], v[104:105], v[106:107]
	v_add_f64_e64 v[64:65], v[66:67], -v[96:97]
	v_add_f64_e64 v[66:67], v[104:105], -v[106:107]
	v_add_f64_e32 v[68:69], v[28:29], v[78:79]
	v_add_f64_e32 v[72:73], v[30:31], v[80:81]
	;; [unrolled: 1-line block ×3, first 2 shown]
	v_add_f64_e64 v[76:77], v[28:29], -v[78:79]
	v_add_f64_e64 v[80:81], v[30:31], -v[80:81]
	;; [unrolled: 1-line block ×7, first 2 shown]
	v_add_f64_e32 v[74:75], v[84:85], v[102:103]
	v_add_f64_e64 v[82:83], v[84:85], -v[102:103]
	ds_store_b128 v192, v[60:63]
	ds_store_b128 v192, v[68:71] offset:960
	ds_store_b128 v192, v[72:75] offset:1920
	;; [unrolled: 1-line block ×5, first 2 shown]
	s_and_saveexec_b32 s1, vcc_lo
	s_cbranch_execz .LBB0_25
; %bb.24:
	v_add_f64_e32 v[40:41], v[40:41], v[46:47]
	v_add_f64_e32 v[38:39], v[36:37], v[38:39]
	;; [unrolled: 1-line block ×6, first 2 shown]
	v_and_b32_e32 v36, 0xffff, v187
	s_delay_alu instid0(VALU_DEP_1) | instskip(NEXT) | instid1(VALU_DEP_1)
	v_mul_u32_u24_e32 v36, 0x168, v36
	v_add_nc_u32_e32 v36, v36, v188
	s_delay_alu instid0(VALU_DEP_1)
	v_lshl_add_u32 v36, v36, 4, v185
	ds_store_b128 v36, v[38:41]
	ds_store_b128 v36, v[56:59] offset:960
	ds_store_b128 v36, v[52:55] offset:1920
	;; [unrolled: 1-line block ×5, first 2 shown]
.LBB0_25:
	s_wait_alu 0xfffe
	s_or_b32 exec_lo, exec_lo, s1
	global_wb scope:SCOPE_SE
	s_wait_dscnt 0x0
	s_barrier_signal -1
	s_barrier_wait -1
	global_inv scope:SCOPE_SE
	ds_load_b128 v[44:47], v184
	ds_load_b128 v[36:39], v184 offset:1728
	ds_load_b128 v[60:63], v184 offset:11520
	ds_load_b128 v[48:51], v184 offset:13248
	ds_load_b128 v[68:71], v184 offset:5760
	ds_load_b128 v[40:43], v184 offset:3456
	ds_load_b128 v[64:67], v184 offset:7488
	ds_load_b128 v[52:55], v184 offset:9216
	ds_load_b128 v[56:59], v184 offset:14976
	v_add_nc_u32_e32 v72, 0xd80, v193
	s_and_saveexec_b32 s1, s0
	s_cbranch_execz .LBB0_27
; %bb.26:
	ds_load_b128 v[24:27], v184 offset:5184
	ds_load_b128 v[28:31], v184 offset:10944
	;; [unrolled: 1-line block ×3, first 2 shown]
.LBB0_27:
	s_wait_alu 0xfffe
	s_or_b32 exec_lo, exec_lo, s1
	s_wait_dscnt 0x4
	v_mul_f64_e32 v[73:74], v[130:131], v[70:71]
	v_mul_f64_e32 v[75:76], v[114:115], v[62:63]
	;; [unrolled: 1-line block ×4, first 2 shown]
	s_wait_dscnt 0x2
	v_mul_f64_e32 v[81:82], v[118:119], v[66:67]
	v_mul_f64_e32 v[83:84], v[110:111], v[50:51]
	;; [unrolled: 1-line block ×4, first 2 shown]
	s_wait_dscnt 0x1
	v_mul_f64_e32 v[98:99], v[126:127], v[54:55]
	s_wait_dscnt 0x0
	v_mul_f64_e32 v[100:101], v[122:123], v[58:59]
	v_mul_f64_e32 v[102:103], v[126:127], v[52:53]
	;; [unrolled: 1-line block ×3, first 2 shown]
	s_mov_b32 s8, s2
	v_fma_f64 v[68:69], v[128:129], v[68:69], v[73:74]
	v_fma_f64 v[60:61], v[112:113], v[60:61], v[75:76]
	v_fma_f64 v[70:71], v[128:129], v[70:71], -v[77:78]
	v_fma_f64 v[62:63], v[112:113], v[62:63], -v[79:80]
	v_fma_f64 v[64:65], v[116:117], v[64:65], v[81:82]
	v_fma_f64 v[48:49], v[108:109], v[48:49], v[83:84]
	v_fma_f64 v[66:67], v[116:117], v[66:67], -v[85:86]
	v_fma_f64 v[50:51], v[108:109], v[50:51], -v[96:97]
	;; [unrolled: 4-line block ×3, first 2 shown]
	v_add_f64_e32 v[85:86], v[44:45], v[68:69]
	v_add_f64_e32 v[73:74], v[68:69], v[60:61]
	v_add_f64_e64 v[68:69], v[68:69], -v[60:61]
	v_add_f64_e32 v[75:76], v[70:71], v[62:63]
	v_add_f64_e64 v[96:97], v[70:71], -v[62:63]
	v_add_f64_e32 v[77:78], v[64:65], v[48:49]
	v_add_f64_e32 v[70:71], v[46:47], v[70:71]
	;; [unrolled: 1-line block ×9, first 2 shown]
	v_add_f64_e64 v[66:67], v[66:67], -v[50:51]
	v_add_f64_e64 v[64:65], v[64:65], -v[48:49]
	;; [unrolled: 1-line block ×4, first 2 shown]
	v_fma_f64 v[73:74], v[73:74], -0.5, v[44:45]
	v_fma_f64 v[75:76], v[75:76], -0.5, v[46:47]
	;; [unrolled: 1-line block ×3, first 2 shown]
	v_add_f64_e32 v[36:37], v[85:86], v[60:61]
	v_fma_f64 v[79:80], v[79:80], -0.5, v[38:39]
	v_add_f64_e32 v[38:39], v[70:71], v[62:63]
	v_fma_f64 v[81:82], v[81:82], -0.5, v[40:41]
	;; [unrolled: 2-line block ×3, first 2 shown]
	v_add_f64_e32 v[42:43], v[100:101], v[50:51]
	v_add_f64_e32 v[44:45], v[102:103], v[56:57]
	;; [unrolled: 1-line block ×3, first 2 shown]
	s_wait_alu 0xfffe
	v_fma_f64 v[52:53], v[96:97], s[8:9], v[73:74]
	v_fma_f64 v[48:49], v[96:97], s[2:3], v[73:74]
	;; [unrolled: 1-line block ×12, first 2 shown]
	ds_store_b128 v184, v[36:39]
	ds_store_b128 v184, v[40:43] offset:1728
	ds_store_b128 v184, v[52:55] offset:11520
	;; [unrolled: 1-line block ×8, first 2 shown]
	s_and_saveexec_b32 s1, s0
	s_cbranch_execz .LBB0_29
; %bb.28:
	v_mul_f64_e32 v[36:37], v[94:95], v[28:29]
	v_mul_f64_e32 v[38:39], v[90:91], v[32:33]
	;; [unrolled: 1-line block ×4, first 2 shown]
	s_delay_alu instid0(VALU_DEP_4) | instskip(NEXT) | instid1(VALU_DEP_4)
	v_fma_f64 v[30:31], v[92:93], v[30:31], -v[36:37]
	v_fma_f64 v[34:35], v[88:89], v[34:35], -v[38:39]
	s_delay_alu instid0(VALU_DEP_4) | instskip(NEXT) | instid1(VALU_DEP_4)
	v_fma_f64 v[28:29], v[92:93], v[28:29], v[40:41]
	v_fma_f64 v[32:33], v[88:89], v[32:33], v[42:43]
	s_delay_alu instid0(VALU_DEP_4) | instskip(NEXT) | instid1(VALU_DEP_4)
	v_add_f64_e32 v[42:43], v[26:27], v[30:31]
	v_add_f64_e32 v[36:37], v[30:31], v[34:35]
	v_add_f64_e64 v[44:45], v[30:31], -v[34:35]
	s_delay_alu instid0(VALU_DEP_4)
	v_add_f64_e32 v[38:39], v[28:29], v[32:33]
	v_add_f64_e64 v[40:41], v[28:29], -v[32:33]
	v_add_f64_e32 v[28:29], v[24:25], v[28:29]
	v_fma_f64 v[36:37], v[36:37], -0.5, v[26:27]
	v_add_f64_e32 v[26:27], v[42:43], v[34:35]
	v_fma_f64 v[38:39], v[38:39], -0.5, v[24:25]
	s_delay_alu instid0(VALU_DEP_4) | instskip(NEXT) | instid1(VALU_DEP_4)
	v_add_f64_e32 v[24:25], v[28:29], v[32:33]
	v_fma_f64 v[34:35], v[40:41], s[8:9], v[36:37]
	v_fma_f64 v[30:31], v[40:41], s[2:3], v[36:37]
	s_delay_alu instid0(VALU_DEP_4)
	v_fma_f64 v[32:33], v[44:45], s[2:3], v[38:39]
	v_fma_f64 v[28:29], v[44:45], s[8:9], v[38:39]
	ds_store_b128 v184, v[24:27] offset:5184
	ds_store_b128 v184, v[32:35] offset:10944
	;; [unrolled: 1-line block ×3, first 2 shown]
.LBB0_29:
	s_wait_alu 0xfffe
	s_or_b32 exec_lo, exec_lo, s1
	global_wb scope:SCOPE_SE
	s_wait_dscnt 0x0
	s_barrier_signal -1
	s_barrier_wait -1
	global_inv scope:SCOPE_SE
	ds_load_b128 v[24:27], v184
	ds_load_b128 v[28:31], v184 offset:2880
	ds_load_b128 v[32:35], v184 offset:5760
	;; [unrolled: 1-line block ×5, first 2 shown]
	v_mad_co_u64_u32 v[60:61], null, s6, v180, 0
	s_mov_b32 s2, 0xc901e574
	s_mov_b32 s3, 0x3f4e573a
	s_wait_dscnt 0x5
	v_mul_f64_e32 v[48:49], v[2:3], v[26:27]
	v_mul_f64_e32 v[2:3], v[2:3], v[24:25]
	s_wait_dscnt 0x4
	v_mul_f64_e32 v[50:51], v[6:7], v[30:31]
	v_mul_f64_e32 v[6:7], v[6:7], v[28:29]
	;; [unrolled: 3-line block ×6, first 2 shown]
	v_fma_f64 v[24:25], v[0:1], v[24:25], v[48:49]
	v_fma_f64 v[0:1], v[0:1], v[26:27], -v[2:3]
	v_fma_f64 v[26:27], v[4:5], v[28:29], v[50:51]
	v_fma_f64 v[28:29], v[4:5], v[30:31], -v[6:7]
	;; [unrolled: 2-line block ×6, first 2 shown]
	v_mov_b32_e32 v4, v61
	v_mad_co_u64_u32 v[2:3], null, s4, v183, 0
	s_delay_alu instid0(VALU_DEP_2) | instskip(SKIP_3) | instid1(VALU_DEP_1)
	v_mad_co_u64_u32 v[4:5], null, s7, v180, v[4:5]
	s_mul_u64 s[6:7], s[4:5], 0xb4
	s_wait_alu 0xfffe
	s_lshl_b64 s[6:7], s[6:7], 4
	v_mad_co_u64_u32 v[5:6], null, s5, v183, v[3:4]
	v_mov_b32_e32 v61, v4
	s_delay_alu instid0(VALU_DEP_1) | instskip(NEXT) | instid1(VALU_DEP_3)
	v_lshlrev_b64_e32 v[46:47], 4, v[60:61]
	v_mov_b32_e32 v3, v5
	s_delay_alu instid0(VALU_DEP_1)
	v_lshlrev_b64_e32 v[48:49], 4, v[2:3]
	v_mul_f64_e32 v[2:3], s[2:3], v[24:25]
	v_mul_f64_e32 v[4:5], s[2:3], v[0:1]
	;; [unrolled: 1-line block ×4, first 2 shown]
	v_add_co_u32 v0, s0, s10, v46
	v_mul_f64_e32 v[10:11], s[2:3], v[30:31]
	v_mul_f64_e32 v[12:13], s[2:3], v[32:33]
	;; [unrolled: 1-line block ×4, first 2 shown]
	s_wait_alu 0xf1ff
	v_add_co_ci_u32_e64 v1, s0, s11, v47, s0
	v_mul_f64_e32 v[18:19], s[2:3], v[38:39]
	v_mul_f64_e32 v[20:21], s[2:3], v[40:41]
	v_mul_f64_e32 v[22:23], s[2:3], v[42:43]
	v_mul_f64_e32 v[24:25], s[2:3], v[44:45]
	v_add_co_u32 v26, s0, v0, v48
	s_wait_alu 0xf1ff
	v_add_co_ci_u32_e64 v27, s0, v1, v49, s0
	s_wait_alu 0xfffe
	s_delay_alu instid0(VALU_DEP_2) | instskip(SKIP_1) | instid1(VALU_DEP_2)
	v_add_co_u32 v28, s0, v26, s6
	s_wait_alu 0xf1ff
	v_add_co_ci_u32_e64 v29, s0, s7, v27, s0
	s_delay_alu instid0(VALU_DEP_2) | instskip(SKIP_1) | instid1(VALU_DEP_2)
	v_add_co_u32 v30, s0, v28, s6
	s_wait_alu 0xf1ff
	v_add_co_ci_u32_e64 v31, s0, s7, v29, s0
	s_delay_alu instid0(VALU_DEP_2) | instskip(SKIP_1) | instid1(VALU_DEP_2)
	v_add_co_u32 v32, s0, v30, s6
	s_wait_alu 0xf1ff
	v_add_co_ci_u32_e64 v33, s0, s7, v31, s0
	s_delay_alu instid0(VALU_DEP_2) | instskip(SKIP_1) | instid1(VALU_DEP_2)
	v_add_co_u32 v34, s0, v32, s6
	s_wait_alu 0xf1ff
	v_add_co_ci_u32_e64 v35, s0, s7, v33, s0
	s_delay_alu instid0(VALU_DEP_2) | instskip(SKIP_1) | instid1(VALU_DEP_2)
	v_add_co_u32 v0, s0, v34, s6
	s_wait_alu 0xf1ff
	v_add_co_ci_u32_e64 v1, s0, s7, v35, s0
	s_clause 0x4
	global_store_b128 v[26:27], v[2:5], off
	global_store_b128 v[28:29], v[6:9], off
	;; [unrolled: 1-line block ×6, first 2 shown]
	s_and_b32 exec_lo, exec_lo, vcc_lo
	s_cbranch_execz .LBB0_31
; %bb.30:
	s_clause 0x5
	global_load_b128 v[2:5], v[181:182], off offset:1728
	global_load_b128 v[6:9], v[181:182], off offset:4608
	;; [unrolled: 1-line block ×6, first 2 shown]
	ds_load_b128 v[26:29], v184 offset:1728
	ds_load_b128 v[30:33], v184 offset:4608
	;; [unrolled: 1-line block ×6, first 2 shown]
	s_mul_i32 s0, s5, 0xffffce80
	s_wait_alu 0xfffe
	s_sub_co_i32 s0, s0, s4
	s_wait_loadcnt_dscnt 0x505
	v_mul_f64_e32 v[50:51], v[28:29], v[4:5]
	v_mul_f64_e32 v[4:5], v[26:27], v[4:5]
	s_wait_loadcnt_dscnt 0x404
	v_mul_f64_e32 v[52:53], v[32:33], v[8:9]
	v_mul_f64_e32 v[8:9], v[30:31], v[8:9]
	;; [unrolled: 3-line block ×6, first 2 shown]
	v_fma_f64 v[26:27], v[26:27], v[2:3], v[50:51]
	v_fma_f64 v[2:3], v[2:3], v[28:29], -v[4:5]
	v_fma_f64 v[4:5], v[30:31], v[6:7], v[52:53]
	v_fma_f64 v[6:7], v[6:7], v[32:33], -v[8:9]
	v_fma_f64 v[8:9], v[34:35], v[10:11], v[54:55]
	v_fma_f64 v[10:11], v[10:11], v[36:37], -v[12:13]
	v_fma_f64 v[12:13], v[38:39], v[14:15], v[56:57]
	v_fma_f64 v[14:15], v[14:15], v[40:41], -v[16:17]
	v_fma_f64 v[16:17], v[42:43], v[18:19], v[58:59]
	v_fma_f64 v[18:19], v[18:19], v[44:45], -v[20:21]
	v_fma_f64 v[20:21], v[46:47], v[22:23], v[60:61]
	v_fma_f64 v[22:23], v[22:23], v[48:49], -v[24:25]
	v_mad_co_u64_u32 v[24:25], null, 0xffffce80, s4, v[0:1]
	s_wait_alu 0xfffe
	s_delay_alu instid0(VALU_DEP_1)
	v_add_nc_u32_e32 v25, s0, v25
	v_mul_f64_e32 v[0:1], s[2:3], v[26:27]
	v_mul_f64_e32 v[2:3], s[2:3], v[2:3]
	;; [unrolled: 1-line block ×12, first 2 shown]
	v_add_co_u32 v26, vcc_lo, v24, s6
	s_wait_alu 0xfffd
	v_add_co_ci_u32_e32 v27, vcc_lo, s7, v25, vcc_lo
	s_delay_alu instid0(VALU_DEP_2) | instskip(SKIP_1) | instid1(VALU_DEP_2)
	v_add_co_u32 v28, vcc_lo, v26, s6
	s_wait_alu 0xfffd
	v_add_co_ci_u32_e32 v29, vcc_lo, s7, v27, vcc_lo
	s_delay_alu instid0(VALU_DEP_2) | instskip(SKIP_1) | instid1(VALU_DEP_2)
	;; [unrolled: 4-line block ×4, first 2 shown]
	v_add_co_u32 v34, vcc_lo, v32, s6
	s_wait_alu 0xfffd
	v_add_co_ci_u32_e32 v35, vcc_lo, s7, v33, vcc_lo
	global_store_b128 v[24:25], v[0:3], off
	global_store_b128 v[26:27], v[4:7], off
	;; [unrolled: 1-line block ×6, first 2 shown]
.LBB0_31:
	s_nop 0
	s_sendmsg sendmsg(MSG_DEALLOC_VGPRS)
	s_endpgm
	.section	.rodata,"a",@progbits
	.p2align	6, 0x0
	.amdhsa_kernel bluestein_single_back_len1080_dim1_dp_op_CI_CI
		.amdhsa_group_segment_fixed_size 34560
		.amdhsa_private_segment_fixed_size 0
		.amdhsa_kernarg_size 104
		.amdhsa_user_sgpr_count 2
		.amdhsa_user_sgpr_dispatch_ptr 0
		.amdhsa_user_sgpr_queue_ptr 0
		.amdhsa_user_sgpr_kernarg_segment_ptr 1
		.amdhsa_user_sgpr_dispatch_id 0
		.amdhsa_user_sgpr_private_segment_size 0
		.amdhsa_wavefront_size32 1
		.amdhsa_uses_dynamic_stack 0
		.amdhsa_enable_private_segment 0
		.amdhsa_system_sgpr_workgroup_id_x 1
		.amdhsa_system_sgpr_workgroup_id_y 0
		.amdhsa_system_sgpr_workgroup_id_z 0
		.amdhsa_system_sgpr_workgroup_info 0
		.amdhsa_system_vgpr_workitem_id 0
		.amdhsa_next_free_vgpr 238
		.amdhsa_next_free_sgpr 24
		.amdhsa_reserve_vcc 1
		.amdhsa_float_round_mode_32 0
		.amdhsa_float_round_mode_16_64 0
		.amdhsa_float_denorm_mode_32 3
		.amdhsa_float_denorm_mode_16_64 3
		.amdhsa_fp16_overflow 0
		.amdhsa_workgroup_processor_mode 1
		.amdhsa_memory_ordered 1
		.amdhsa_forward_progress 0
		.amdhsa_round_robin_scheduling 0
		.amdhsa_exception_fp_ieee_invalid_op 0
		.amdhsa_exception_fp_denorm_src 0
		.amdhsa_exception_fp_ieee_div_zero 0
		.amdhsa_exception_fp_ieee_overflow 0
		.amdhsa_exception_fp_ieee_underflow 0
		.amdhsa_exception_fp_ieee_inexact 0
		.amdhsa_exception_int_div_zero 0
	.end_amdhsa_kernel
	.text
.Lfunc_end0:
	.size	bluestein_single_back_len1080_dim1_dp_op_CI_CI, .Lfunc_end0-bluestein_single_back_len1080_dim1_dp_op_CI_CI
                                        ; -- End function
	.section	.AMDGPU.csdata,"",@progbits
; Kernel info:
; codeLenInByte = 13268
; NumSgprs: 26
; NumVgprs: 238
; ScratchSize: 0
; MemoryBound: 0
; FloatMode: 240
; IeeeMode: 1
; LDSByteSize: 34560 bytes/workgroup (compile time only)
; SGPRBlocks: 3
; VGPRBlocks: 29
; NumSGPRsForWavesPerEU: 26
; NumVGPRsForWavesPerEU: 238
; Occupancy: 6
; WaveLimiterHint : 1
; COMPUTE_PGM_RSRC2:SCRATCH_EN: 0
; COMPUTE_PGM_RSRC2:USER_SGPR: 2
; COMPUTE_PGM_RSRC2:TRAP_HANDLER: 0
; COMPUTE_PGM_RSRC2:TGID_X_EN: 1
; COMPUTE_PGM_RSRC2:TGID_Y_EN: 0
; COMPUTE_PGM_RSRC2:TGID_Z_EN: 0
; COMPUTE_PGM_RSRC2:TIDIG_COMP_CNT: 0
	.text
	.p2alignl 7, 3214868480
	.fill 96, 4, 3214868480
	.type	__hip_cuid_bbe92f1966af82c,@object ; @__hip_cuid_bbe92f1966af82c
	.section	.bss,"aw",@nobits
	.globl	__hip_cuid_bbe92f1966af82c
__hip_cuid_bbe92f1966af82c:
	.byte	0                               ; 0x0
	.size	__hip_cuid_bbe92f1966af82c, 1

	.ident	"AMD clang version 19.0.0git (https://github.com/RadeonOpenCompute/llvm-project roc-6.4.0 25133 c7fe45cf4b819c5991fe208aaa96edf142730f1d)"
	.section	".note.GNU-stack","",@progbits
	.addrsig
	.addrsig_sym __hip_cuid_bbe92f1966af82c
	.amdgpu_metadata
---
amdhsa.kernels:
  - .args:
      - .actual_access:  read_only
        .address_space:  global
        .offset:         0
        .size:           8
        .value_kind:     global_buffer
      - .actual_access:  read_only
        .address_space:  global
        .offset:         8
        .size:           8
        .value_kind:     global_buffer
      - .actual_access:  read_only
        .address_space:  global
        .offset:         16
        .size:           8
        .value_kind:     global_buffer
      - .actual_access:  read_only
        .address_space:  global
        .offset:         24
        .size:           8
        .value_kind:     global_buffer
      - .actual_access:  read_only
        .address_space:  global
        .offset:         32
        .size:           8
        .value_kind:     global_buffer
      - .offset:         40
        .size:           8
        .value_kind:     by_value
      - .address_space:  global
        .offset:         48
        .size:           8
        .value_kind:     global_buffer
      - .address_space:  global
        .offset:         56
        .size:           8
        .value_kind:     global_buffer
      - .address_space:  global
        .offset:         64
        .size:           8
        .value_kind:     global_buffer
      - .address_space:  global
        .offset:         72
        .size:           8
        .value_kind:     global_buffer
      - .offset:         80
        .size:           4
        .value_kind:     by_value
      - .address_space:  global
        .offset:         88
        .size:           8
        .value_kind:     global_buffer
      - .address_space:  global
        .offset:         96
        .size:           8
        .value_kind:     global_buffer
    .group_segment_fixed_size: 34560
    .kernarg_segment_align: 8
    .kernarg_segment_size: 104
    .language:       OpenCL C
    .language_version:
      - 2
      - 0
    .max_flat_workgroup_size: 216
    .name:           bluestein_single_back_len1080_dim1_dp_op_CI_CI
    .private_segment_fixed_size: 0
    .sgpr_count:     26
    .sgpr_spill_count: 0
    .symbol:         bluestein_single_back_len1080_dim1_dp_op_CI_CI.kd
    .uniform_work_group_size: 1
    .uses_dynamic_stack: false
    .vgpr_count:     238
    .vgpr_spill_count: 0
    .wavefront_size: 32
    .workgroup_processor_mode: 1
amdhsa.target:   amdgcn-amd-amdhsa--gfx1201
amdhsa.version:
  - 1
  - 2
...

	.end_amdgpu_metadata
